;; amdgpu-corpus repo=ROCm/rocFFT kind=compiled arch=gfx1201 opt=O3
	.text
	.amdgcn_target "amdgcn-amd-amdhsa--gfx1201"
	.amdhsa_code_object_version 6
	.protected	bluestein_single_fwd_len416_dim1_sp_op_CI_CI ; -- Begin function bluestein_single_fwd_len416_dim1_sp_op_CI_CI
	.globl	bluestein_single_fwd_len416_dim1_sp_op_CI_CI
	.p2align	8
	.type	bluestein_single_fwd_len416_dim1_sp_op_CI_CI,@function
bluestein_single_fwd_len416_dim1_sp_op_CI_CI: ; @bluestein_single_fwd_len416_dim1_sp_op_CI_CI
; %bb.0:
	s_load_b128 s[16:19], s[0:1], 0x28
	v_lshrrev_b32_e32 v1, 5, v0
	v_mov_b32_e32 v25, 0
	s_mov_b32 s2, exec_lo
	s_delay_alu instid0(VALU_DEP_2) | instskip(NEXT) | instid1(VALU_DEP_2)
	v_lshl_or_b32 v57, ttmp9, 1, v1
	v_mov_b32_e32 v58, v25
	s_wait_kmcnt 0x0
	s_delay_alu instid0(VALU_DEP_1)
	v_cmpx_gt_u64_e64 s[16:17], v[57:58]
	s_cbranch_execz .LBB0_18
; %bb.1:
	s_clause 0x1
	s_load_b128 s[4:7], s[0:1], 0x18
	s_load_b128 s[8:11], s[0:1], 0x0
	v_and_b32_e32 v106, 31, v0
	s_delay_alu instid0(VALU_DEP_1)
	v_lshlrev_b32_e32 v56, 3, v106
	s_wait_kmcnt 0x0
	s_load_b128 s[12:15], s[4:5], 0x0
	s_clause 0xa
	global_load_b64 v[60:61], v56, s[8:9]
	global_load_b64 v[64:65], v56, s[8:9] offset:256
	global_load_b64 v[58:59], v56, s[8:9] offset:512
	;; [unrolled: 1-line block ×10, first 2 shown]
	s_wait_kmcnt 0x0
	v_mad_co_u64_u32 v[1:2], null, s14, v57, 0
	v_mad_co_u64_u32 v[3:4], null, s12, v106, 0
	s_lshl_b64 s[2:3], s[12:13], 8
	s_delay_alu instid0(VALU_DEP_1) | instskip(NEXT) | instid1(VALU_DEP_1)
	v_mad_co_u64_u32 v[5:6], null, s15, v57, v[2:3]
	v_mad_co_u64_u32 v[6:7], null, s13, v106, v[4:5]
	v_mov_b32_e32 v2, v5
	s_delay_alu instid0(VALU_DEP_1) | instskip(NEXT) | instid1(VALU_DEP_3)
	v_lshlrev_b64_e32 v[1:2], 3, v[1:2]
	v_mov_b32_e32 v4, v6
	s_delay_alu instid0(VALU_DEP_2) | instskip(NEXT) | instid1(VALU_DEP_2)
	v_add_co_u32 v1, vcc_lo, s18, v1
	v_lshlrev_b64_e32 v[3:4], 3, v[3:4]
	s_delay_alu instid0(VALU_DEP_4) | instskip(NEXT) | instid1(VALU_DEP_2)
	v_add_co_ci_u32_e32 v2, vcc_lo, s19, v2, vcc_lo
	v_add_co_u32 v1, vcc_lo, v1, v3
	s_wait_alu 0xfffd
	s_delay_alu instid0(VALU_DEP_2) | instskip(NEXT) | instid1(VALU_DEP_2)
	v_add_co_ci_u32_e32 v2, vcc_lo, v2, v4, vcc_lo
	v_add_co_u32 v3, vcc_lo, v1, s2
	s_wait_alu 0xfffd
	s_delay_alu instid0(VALU_DEP_2) | instskip(SKIP_4) | instid1(VALU_DEP_2)
	v_add_co_ci_u32_e32 v4, vcc_lo, s3, v2, vcc_lo
	global_load_b64 v[1:2], v[1:2], off
	v_add_co_u32 v5, vcc_lo, v3, s2
	s_wait_alu 0xfffd
	v_add_co_ci_u32_e32 v6, vcc_lo, s3, v4, vcc_lo
	v_add_co_u32 v7, vcc_lo, v5, s2
	s_wait_alu 0xfffd
	s_delay_alu instid0(VALU_DEP_2)
	v_add_co_ci_u32_e32 v8, vcc_lo, s3, v6, vcc_lo
	s_clause 0x1
	global_load_b64 v[3:4], v[3:4], off
	global_load_b64 v[5:6], v[5:6], off
	v_add_co_u32 v9, vcc_lo, v7, s2
	s_wait_alu 0xfffd
	v_add_co_ci_u32_e32 v10, vcc_lo, s3, v8, vcc_lo
	s_delay_alu instid0(VALU_DEP_2) | instskip(SKIP_1) | instid1(VALU_DEP_2)
	v_add_co_u32 v11, vcc_lo, v9, s2
	s_wait_alu 0xfffd
	v_add_co_ci_u32_e32 v12, vcc_lo, s3, v10, vcc_lo
	s_clause 0x1
	global_load_b64 v[7:8], v[7:8], off
	global_load_b64 v[9:10], v[9:10], off
	v_add_co_u32 v13, vcc_lo, v11, s2
	s_wait_alu 0xfffd
	v_add_co_ci_u32_e32 v14, vcc_lo, s3, v12, vcc_lo
	global_load_b64 v[11:12], v[11:12], off
	v_add_co_u32 v15, vcc_lo, v13, s2
	s_wait_alu 0xfffd
	v_add_co_ci_u32_e32 v16, vcc_lo, s3, v14, vcc_lo
	;; [unrolled: 4-line block ×7, first 2 shown]
	s_load_b64 s[2:3], s[0:1], 0x38
	s_wait_loadcnt 0x9
	v_mul_f32_e32 v31, v4, v65
	s_wait_loadcnt 0x8
	v_mul_f32_e32 v33, v6, v59
	global_load_b64 v[80:81], v56, s[8:9] offset:2816
	global_load_b64 v[29:30], v[23:24], off
	global_load_b64 v[82:83], v56, s[8:9] offset:3072
	global_load_b64 v[26:27], v[26:27], off
	v_and_b32_e32 v0, 32, v0
	v_mul_f32_e32 v32, v3, v65
	v_fmac_f32_e32 v31, v3, v64
	v_fmac_f32_e32 v33, v5, v58
	v_mul_f32_e32 v34, v5, v59
	v_cmp_ne_u32_e32 vcc_lo, 0, v0
	v_mul_f32_e32 v0, v2, v61
	s_load_b128 s[4:7], s[6:7], 0x0
	s_wait_loadcnt 0xa
	v_mul_f32_e32 v3, v9, v67
	v_fma_f32 v32, v4, v64, -v32
	v_cndmask_b32_e64 v109, 0, 0x1a0, vcc_lo
	v_fmac_f32_e32 v0, v1, v60
	v_fma_f32 v34, v6, v58, -v34
	s_wait_loadcnt 0x9
	v_mul_f32_e32 v4, v12, v69
	v_fma_f32 v3, v10, v66, -v3
	v_or_b32_e32 v23, v109, v106
	v_lshl_or_b32 v107, v109, 3, v56
	v_mul_f32_e32 v5, v11, v69
	v_fmac_f32_e32 v4, v11, v68
	s_wait_loadcnt 0x8
	v_mul_f32_e32 v6, v14, v73
	v_dual_mul_f32 v23, v1, v61 :: v_dual_lshlrev_b32 v108, 3, v23
	v_add_nc_u32_e32 v28, 0x400, v107
	v_add_nc_u32_e32 v24, 0x800, v107
	v_fma_f32 v5, v12, v68, -v5
	v_fmac_f32_e32 v6, v13, v72
	v_fma_f32 v1, v2, v60, -v23
	v_mul_f32_e32 v2, v10, v67
	s_wait_loadcnt 0x6
	v_mul_f32_e32 v10, v18, v71
	v_mul_f32_e32 v11, v17, v71
	ds_store_b64 v108, v[0:1]
	v_mul_f32_e32 v0, v8, v63
	v_dual_mul_f32 v1, v7, v63 :: v_dual_fmac_f32 v10, v17, v70
	v_dual_fmac_f32 v2, v9, v66 :: v_dual_mul_f32 v9, v15, v77
	s_wait_loadcnt 0x5
	v_mul_f32_e32 v12, v20, v75
	s_delay_alu instid0(VALU_DEP_3)
	v_fma_f32 v1, v8, v62, -v1
	v_mul_f32_e32 v8, v16, v77
	v_fma_f32 v11, v18, v70, -v11
	v_fma_f32 v9, v16, v76, -v9
	v_fmac_f32_e32 v12, v19, v74
	ds_store_2addr_b64 v107, v[31:32], v[33:34] offset0:32 offset1:64
	s_wait_loadcnt 0x4
	v_dual_fmac_f32 v8, v15, v76 :: v_dual_mul_f32 v15, v21, v79
	s_delay_alu instid0(VALU_DEP_1)
	v_fma_f32 v15, v22, v78, -v15
	s_wait_loadcnt 0x2
	v_dual_mul_f32 v17, v29, v81 :: v_dual_fmac_f32 v0, v7, v62
	v_mul_f32_e32 v7, v13, v73
	v_dual_mul_f32 v13, v19, v75 :: v_dual_mul_f32 v16, v30, v81
	s_wait_loadcnt 0x0
	v_mul_f32_e32 v18, v27, v83
	v_mul_f32_e32 v19, v26, v83
	v_fma_f32 v7, v14, v72, -v7
	v_mul_f32_e32 v14, v22, v79
	v_fma_f32 v13, v20, v74, -v13
	v_fmac_f32_e32 v16, v29, v80
	v_fma_f32 v17, v30, v80, -v17
	v_fmac_f32_e32 v18, v26, v82
	v_fmac_f32_e32 v14, v21, v78
	v_fma_f32 v19, v27, v82, -v19
	ds_store_2addr_b64 v107, v[0:1], v[2:3] offset0:96 offset1:128
	ds_store_2addr_b64 v107, v[4:5], v[6:7] offset0:160 offset1:192
	;; [unrolled: 1-line block ×5, first 2 shown]
	global_wb scope:SCOPE_SE
	s_wait_dscnt 0x0
	s_wait_kmcnt 0x0
	s_barrier_signal -1
	s_barrier_wait -1
	global_inv scope:SCOPE_SE
	ds_load_b64 v[26:27], v108
	ds_load_2addr_b64 v[20:23], v107 offset0:32 offset1:64
	ds_load_2addr_b64 v[0:3], v24 offset0:96 offset1:128
	ds_load_2addr_b64 v[16:19], v107 offset0:96 offset1:128
	ds_load_2addr_b64 v[4:7], v24 offset0:32 offset1:64
	ds_load_2addr_b64 v[12:15], v107 offset0:160 offset1:192
	ds_load_2addr_b64 v[8:11], v28 offset0:96 offset1:128
	global_wb scope:SCOPE_SE
	s_wait_dscnt 0x0
	s_barrier_signal -1
	s_barrier_wait -1
	global_inv scope:SCOPE_SE
	v_add_f32_e32 v29, v26, v20
	v_dual_sub_f32 v35, v22, v0 :: v_dual_sub_f32 v36, v23, v1
	v_add_f32_e32 v31, v2, v20
	v_add_f32_e32 v33, v0, v22
	s_delay_alu instid0(VALU_DEP_3)
	v_dual_add_f32 v37, v6, v16 :: v_dual_mul_f32 v90, 0xbf52af12, v35
	v_mul_f32_e32 v92, 0xbf6f5d39, v35
	v_mul_f32_e32 v94, 0xbe750f2a, v35
	v_mul_f32_e32 v96, 0x3f29c268, v35
	v_mul_f32_e32 v98, 0x3f7e222b, v35
	v_dual_mul_f32 v35, 0x3eedf032, v35 :: v_dual_add_f32 v30, v27, v21
	v_dual_mul_f32 v91, 0xbf6f5d39, v36 :: v_dual_add_f32 v32, v3, v21
	v_mul_f32_e32 v93, 0xbe750f2a, v36
	v_dual_sub_f32 v21, v21, v3 :: v_dual_sub_f32 v20, v20, v2
	v_add_f32_e32 v34, v1, v23
	v_dual_add_f32 v23, v30, v23 :: v_dual_add_f32 v38, v7, v17
	v_dual_mul_f32 v95, 0x3f29c268, v36 :: v_dual_sub_f32 v40, v17, v7
	s_delay_alu instid0(VALU_DEP_4) | instskip(SKIP_1) | instid1(VALU_DEP_4)
	v_dual_mul_f32 v87, 0xbf29c268, v21 :: v_dual_add_f32 v22, v29, v22
	v_mul_f32_e32 v55, 0xbf7e222b, v21
	v_dual_mul_f32 v30, 0xbeedf032, v20 :: v_dual_add_f32 v17, v23, v17
	v_dual_mul_f32 v54, 0xbf52af12, v20 :: v_dual_sub_f32 v39, v16, v6
	v_add_f32_e32 v42, v5, v19
	v_dual_sub_f32 v44, v19, v5 :: v_dual_mul_f32 v97, 0x3f7e222b, v36
	v_dual_sub_f32 v47, v12, v10 :: v_dual_sub_f32 v48, v13, v11
	v_mul_f32_e32 v101, 0xbe750f2a, v40
	v_mul_f32_e32 v29, 0xbeedf032, v21
	;; [unrolled: 1-line block ×6, first 2 shown]
	v_dual_add_f32 v16, v22, v16 :: v_dual_fmamk_f32 v23, v32, 0x3f62ad3f, v30
	v_fma_f32 v30, 0x3f62ad3f, v32, -v30
	v_add_f32_e32 v17, v17, v19
	v_fmamk_f32 v139, v32, 0x3f116cb1, v54
	v_dual_sub_f32 v43, v18, v4 :: v_dual_add_f32 v46, v11, v13
	v_dual_mul_f32 v99, 0xbf7e222b, v40 :: v_dual_sub_f32 v52, v15, v9
	v_mul_f32_e32 v105, 0x3eedf032, v40
	s_delay_alu instid0(VALU_DEP_3)
	v_dual_mul_f32 v84, 0xbf7e222b, v20 :: v_dual_mul_f32 v121, 0xbf7e222b, v43
	v_mul_f32_e32 v86, 0xbf6f5d39, v20
	v_mul_f32_e32 v88, 0xbf29c268, v20
	v_dual_mul_f32 v20, 0xbe750f2a, v20 :: v_dual_add_f32 v19, v27, v23
	v_mul_f32_e32 v113, 0xbf6f5d39, v44
	v_dual_mul_f32 v123, 0xbf29c268, v48 :: v_dual_mul_f32 v128, 0xbf29c268, v47
	v_dual_mul_f32 v124, 0x3f7e222b, v48 :: v_dual_mul_f32 v129, 0x3f7e222b, v47
	;; [unrolled: 1-line block ×4, first 2 shown]
	v_fmamk_f32 v149, v34, 0xbeb58ec6, v92
	v_add_f32_e32 v23, v27, v30
	v_add_f32_e32 v30, v27, v139
	v_mul_f32_e32 v130, 0xbf52af12, v47
	v_mul_f32_e32 v47, 0xbf6f5d39, v47
	v_add_f32_e32 v41, v4, v18
	v_dual_fmamk_f32 v141, v32, 0x3df6dbef, v84 :: v_dual_fmamk_f32 v174, v42, 0x3df6dbef, v121
	s_delay_alu instid0(VALU_DEP_3) | instskip(SKIP_2) | instid1(VALU_DEP_4)
	v_dual_fmamk_f32 v143, v32, 0xbeb58ec6, v86 :: v_dual_fmamk_f32 v186, v46, 0xbeb58ec6, v47
	v_mul_f32_e32 v116, 0xbf7e222b, v44
	v_dual_add_f32 v50, v9, v15 :: v_dual_mul_f32 v103, 0x3f6f5d39, v40
	v_dual_mul_f32 v100, 0xbf7e222b, v39 :: v_dual_add_f32 v139, v27, v141
	v_fma_f32 v140, 0x3df6dbef, v31, -v55
	v_add_f32_e32 v141, v27, v143
	v_fmac_f32_e32 v55, 0x3df6dbef, v31
	v_fma_f32 v169, 0x3df6dbef, v41, -v116
	v_fmac_f32_e32 v116, 0x3df6dbef, v41
	v_mul_f32_e32 v40, 0xbf29c268, v40
	v_add_f32_e32 v45, v10, v12
	v_add_f32_e32 v55, v26, v55
	v_dual_mul_f32 v120, 0x3eedf032, v43 :: v_dual_mul_f32 v127, 0x3eedf032, v48
	v_mul_f32_e32 v125, 0xbf52af12, v48
	v_fma_f32 v138, 0x3f116cb1, v31, -v53
	v_fmac_f32_e32 v53, 0x3f116cb1, v31
	v_fma_f32 v144, 0xbf3f9e67, v31, -v87
	v_fmac_f32_e32 v87, 0xbf3f9e67, v31
	;; [unrolled: 2-line block ×3, first 2 shown]
	v_mul_f32_e32 v48, 0xbf6f5d39, v48
	v_mul_f32_e32 v89, 0xbf52af12, v36
	v_add_f32_e32 v87, v26, v87
	v_mul_f32_e32 v104, 0x3f6f5d39, v39
	v_dual_mul_f32 v110, 0x3eedf032, v39 :: v_dual_mul_f32 v115, 0x3eedf032, v44
	v_dual_mul_f32 v114, 0x3f29c268, v44 :: v_dual_mul_f32 v119, 0x3f29c268, v43
	v_dual_mul_f32 v137, 0xbf29c268, v52 :: v_dual_add_f32 v16, v16, v18
	v_fma_f32 v22, 0x3f62ad3f, v31, -v29
	v_fma_f32 v54, 0x3f116cb1, v32, -v54
	v_fma_f32 v84, 0x3df6dbef, v32, -v84
	v_fma_f32 v142, 0xbeb58ec6, v31, -v85
	v_fmac_f32_e32 v85, 0xbeb58ec6, v31
	v_fma_f32 v86, 0xbeb58ec6, v32, -v86
	v_fma_f32 v146, 0xbf788fa5, v31, -v21
	v_dual_fmamk_f32 v147, v32, 0xbf788fa5, v20 :: v_dual_fmamk_f32 v184, v46, 0xbf788fa5, v131
	v_fmac_f32_e32 v21, 0xbf788fa5, v31
	v_fma_f32 v20, 0xbf788fa5, v32, -v20
	v_fma_f32 v179, 0xbf788fa5, v45, -v126
	v_fmac_f32_e32 v126, 0xbf788fa5, v45
	s_delay_alu instid0(VALU_DEP_4)
	v_dual_mul_f32 v112, 0xbf52af12, v39 :: v_dual_add_f32 v21, v26, v21
	v_fma_f32 v181, 0xbeb58ec6, v45, -v48
	v_fmac_f32_e32 v48, 0xbeb58ec6, v45
	v_dual_mul_f32 v102, 0xbe750f2a, v39 :: v_dual_add_f32 v85, v26, v85
	v_mul_f32_e32 v39, 0xbf29c268, v39
	v_dual_fmamk_f32 v145, v32, 0xbf3f9e67, v88 :: v_dual_fmamk_f32 v172, v42, 0xbf3f9e67, v119
	v_fma_f32 v88, 0xbf3f9e67, v32, -v88
	v_fmamk_f32 v32, v34, 0x3f116cb1, v90
	v_dual_mul_f32 v36, 0x3eedf032, v36 :: v_dual_add_f32 v53, v26, v53
	v_fmac_f32_e32 v29, 0x3f62ad3f, v31
	v_sub_f32_e32 v51, v14, v8
	v_dual_mul_f32 v117, 0x3e750f2a, v44 :: v_dual_mul_f32 v122, 0x3e750f2a, v43
	v_mul_f32_e32 v44, 0x3f52af12, v44
	v_dual_mul_f32 v118, 0xbf6f5d39, v43 :: v_dual_add_f32 v13, v17, v13
	v_fma_f32 v31, 0x3f116cb1, v33, -v89
	v_dual_fmac_f32 v89, 0x3f116cb1, v33 :: v_dual_add_f32 v18, v26, v22
	v_fma_f32 v148, 0xbeb58ec6, v33, -v91
	v_dual_fmac_f32 v91, 0xbeb58ec6, v33 :: v_dual_add_f32 v54, v27, v54
	v_fma_f32 v150, 0xbf788fa5, v33, -v93
	v_fmac_f32_e32 v93, 0xbf788fa5, v33
	v_fma_f32 v152, 0xbf3f9e67, v33, -v95
	v_fmac_f32_e32 v95, 0xbf3f9e67, v33
	;; [unrolled: 2-line block ×3, first 2 shown]
	v_dual_fmamk_f32 v157, v38, 0x3df6dbef, v100 :: v_dual_add_f32 v12, v16, v12
	v_add_f32_e32 v22, v26, v29
	v_add_f32_e32 v29, v26, v138
	v_add_f32_e32 v138, v26, v140
	v_dual_add_f32 v140, v26, v142 :: v_dual_mul_f32 v43, 0x3f52af12, v43
	v_mul_f32_e32 v133, 0xbe750f2a, v52
	v_mul_f32_e32 v136, 0x3eedf032, v51
	v_fma_f32 v90, 0x3f116cb1, v34, -v90
	v_fma_f32 v92, 0xbeb58ec6, v34, -v92
	v_dual_fmamk_f32 v151, v34, 0xbf788fa5, v94 :: v_dual_add_f32 v84, v27, v84
	v_fma_f32 v94, 0xbf788fa5, v34, -v94
	v_dual_fmamk_f32 v153, v34, 0xbf3f9e67, v96 :: v_dual_add_f32 v86, v27, v86
	v_fma_f32 v96, 0xbf3f9e67, v34, -v96
	v_fma_f32 v154, 0x3df6dbef, v33, -v97
	v_dual_fmamk_f32 v155, v34, 0x3df6dbef, v98 :: v_dual_add_f32 v88, v27, v88
	v_dual_fmac_f32 v97, 0x3df6dbef, v33 :: v_dual_add_f32 v142, v26, v144
	v_fma_f32 v98, 0x3df6dbef, v34, -v98
	v_dual_fmamk_f32 v33, v34, 0x3f62ad3f, v35 :: v_dual_add_f32 v20, v27, v20
	v_fma_f32 v34, 0x3f62ad3f, v34, -v35
	v_fma_f32 v35, 0x3df6dbef, v37, -v99
	v_dual_fmac_f32 v99, 0x3df6dbef, v37 :: v_dual_add_f32 v144, v26, v146
	v_fma_f32 v100, 0x3df6dbef, v38, -v100
	v_fma_f32 v158, 0xbf788fa5, v37, -v101
	v_dual_fmamk_f32 v159, v38, 0xbf788fa5, v102 :: v_dual_add_f32 v16, v31, v18
	v_fma_f32 v102, 0xbf788fa5, v38, -v102
	v_fma_f32 v160, 0xbeb58ec6, v37, -v103
	v_fmac_f32_e32 v103, 0xbeb58ec6, v37
	v_fma_f32 v162, 0x3f62ad3f, v37, -v105
	v_dual_fmamk_f32 v163, v38, 0x3f62ad3f, v110 :: v_dual_add_f32 v26, v91, v53
	v_fmac_f32_e32 v105, 0x3f62ad3f, v37
	v_fma_f32 v110, 0x3f62ad3f, v38, -v110
	v_fma_f32 v164, 0x3f116cb1, v37, -v111
	v_fmamk_f32 v165, v38, 0x3f116cb1, v112
	v_fmac_f32_e32 v111, 0x3f116cb1, v37
	v_fma_f32 v112, 0x3f116cb1, v38, -v112
	v_fma_f32 v167, 0xbf3f9e67, v41, -v114
	v_fmac_f32_e32 v114, 0xbf3f9e67, v41
	v_fma_f32 v168, 0x3f62ad3f, v41, -v115
	v_dual_fmac_f32 v115, 0x3f62ad3f, v41 :: v_dual_add_f32 v88, v98, v88
	v_fma_f32 v170, 0xbf788fa5, v41, -v117
	v_dual_fmac_f32 v117, 0xbf788fa5, v41 :: v_dual_add_f32 v20, v34, v20
	v_fma_f32 v171, 0x3f116cb1, v41, -v44
	v_fmac_f32_e32 v44, 0x3f116cb1, v41
	v_add_f32_e32 v143, v27, v145
	v_add_f32_e32 v145, v27, v147
	v_fmamk_f32 v161, v38, 0xbeb58ec6, v104
	v_fma_f32 v104, 0xbeb58ec6, v38, -v104
	v_add_f32_e32 v53, v152, v140
	v_dual_fmac_f32 v101, 0xbf788fa5, v37 :: v_dual_add_f32 v18, v89, v22
	v_fmamk_f32 v37, v38, 0xbf3f9e67, v39
	v_fma_f32 v38, 0xbf3f9e67, v38, -v39
	v_fma_f32 v39, 0xbeb58ec6, v41, -v113
	v_fmac_f32_e32 v113, 0xbeb58ec6, v41
	v_dual_fmamk_f32 v41, v42, 0xbeb58ec6, v118 :: v_dual_add_f32 v12, v12, v14
	v_add_f32_e32 v22, v148, v29
	v_add_f32_e32 v49, v8, v14
	v_fma_f32 v118, 0xbeb58ec6, v42, -v118
	v_fma_f32 v119, 0xbf3f9e67, v42, -v119
	v_dual_fmamk_f32 v173, v42, 0x3f62ad3f, v120 :: v_dual_add_f32 v14, v35, v16
	v_fma_f32 v120, 0x3f62ad3f, v42, -v120
	v_fma_f32 v121, 0x3df6dbef, v42, -v121
	v_dual_fmamk_f32 v175, v42, 0xbf788fa5, v122 :: v_dual_add_f32 v16, v99, v18
	v_fma_f32 v122, 0xbf788fa5, v42, -v122
	v_fmamk_f32 v176, v42, 0x3f116cb1, v43
	v_fma_f32 v42, 0x3f116cb1, v42, -v43
	v_fma_f32 v43, 0xbf3f9e67, v45, -v123
	v_dual_fmac_f32 v123, 0xbf3f9e67, v45 :: v_dual_add_f32 v18, v158, v22
	v_dual_fmamk_f32 v182, v46, 0x3df6dbef, v129 :: v_dual_add_f32 v31, v93, v55
	v_add_f32_e32 v29, v150, v138
	v_dual_fmamk_f32 v189, v50, 0x3f62ad3f, v136 :: v_dual_add_f32 v8, v12, v8
	v_dual_mul_f32 v134, 0xbe750f2a, v51 :: v_dual_add_f32 v27, v92, v54
	v_fma_f32 v177, 0x3df6dbef, v45, -v124
	v_dual_fmac_f32 v124, 0x3df6dbef, v45 :: v_dual_add_f32 v17, v32, v19
	v_fma_f32 v178, 0x3f116cb1, v45, -v125
	v_dual_fmac_f32 v125, 0x3f116cb1, v45 :: v_dual_add_f32 v22, v101, v26
	v_fma_f32 v180, 0x3f62ad3f, v45, -v127
	v_dual_add_f32 v19, v90, v23 :: v_dual_add_f32 v12, v39, v14
	v_dual_add_f32 v23, v149, v30 :: v_dual_add_f32 v30, v151, v139
	v_dual_add_f32 v32, v94, v84 :: v_dual_fmac_f32 v127, 0x3f62ad3f, v45
	v_dual_fmamk_f32 v45, v46, 0xbf3f9e67, v128 :: v_dual_add_f32 v26, v160, v29
	v_add_f32_e32 v54, v153, v141
	v_add_f32_e32 v84, v96, v86
	;; [unrolled: 1-line block ×3, first 2 shown]
	v_dual_add_f32 v55, v95, v85 :: v_dual_add_f32 v14, v113, v16
	v_dual_add_f32 v89, v156, v144 :: v_dual_add_f32 v16, v167, v18
	v_add_f32_e32 v87, v97, v87
	v_dual_add_f32 v29, v103, v31 :: v_dual_add_f32 v8, v8, v10
	v_add_f32_e32 v85, v154, v142
	v_fma_f32 v128, 0xbf3f9e67, v46, -v128
	v_fma_f32 v129, 0x3df6dbef, v46, -v129
	v_fmamk_f32 v183, v46, 0x3f116cb1, v130
	v_fma_f32 v130, 0x3f116cb1, v46, -v130
	v_fma_f32 v131, 0xbf788fa5, v46, -v131
	v_dual_fmamk_f32 v185, v46, 0x3f62ad3f, v132 :: v_dual_add_f32 v34, v105, v55
	v_fma_f32 v132, 0x3f62ad3f, v46, -v132
	v_fma_f32 v46, 0xbeb58ec6, v46, -v47
	;; [unrolled: 1-line block ×4, first 2 shown]
	v_dual_fmac_f32 v135, 0x3f62ad3f, v49 :: v_dual_add_f32 v20, v38, v20
	v_dual_add_f32 v33, v33, v145 :: v_dual_add_f32 v18, v114, v22
	v_dual_add_f32 v13, v13, v15 :: v_dual_add_f32 v22, v168, v26
	v_add_f32_e32 v15, v157, v17
	v_add_f32_e32 v17, v100, v19
	v_dual_add_f32 v19, v159, v23 :: v_dual_add_f32 v20, v42, v20
	v_add_f32_e32 v35, v110, v84
	v_add_f32_e32 v84, v166, v89
	v_fmac_f32_e32 v133, 0xbf788fa5, v49
	v_add_f32_e32 v23, v102, v27
	v_dual_add_f32 v27, v161, v30 :: v_dual_add_f32 v10, v43, v12
	v_add_f32_e32 v30, v104, v32
	v_dual_add_f32 v32, v163, v54 :: v_dual_add_f32 v21, v36, v21
	v_add_f32_e32 v54, v111, v87
	v_dual_add_f32 v26, v115, v29 :: v_dual_fmamk_f32 v187, v50, 0xbf788fa5, v134
	v_add_f32_e32 v36, v164, v85
	v_dual_add_f32 v12, v123, v14 :: v_dual_add_f32 v31, v162, v53
	v_dual_add_f32 v9, v13, v9 :: v_dual_add_f32 v38, v171, v84
	;; [unrolled: 1-line block ×3, first 2 shown]
	s_delay_alu instid0(VALU_DEP_3)
	v_add_f32_e32 v29, v169, v31
	v_dual_add_f32 v31, v116, v34 :: v_dual_add_f32 v34, v170, v36
	v_add_f32_e32 v36, v117, v54
	v_add_f32_e32 v13, v41, v15
	;; [unrolled: 1-line block ×5, first 2 shown]
	v_dual_add_f32 v23, v173, v27 :: v_dual_add_f32 v6, v4, v6
	v_dual_add_f32 v27, v120, v30 :: v_dual_add_f32 v30, v174, v32
	;; [unrolled: 1-line block ×3, first 2 shown]
	v_add_f32_e32 v16, v124, v18
	s_delay_alu instid0(VALU_DEP_4)
	v_dual_add_f32 v8, v6, v0 :: v_dual_add_f32 v53, v165, v86
	v_dual_add_f32 v55, v112, v88 :: v_dual_add_f32 v18, v178, v22
	v_add_f32_e32 v33, v176, v33
	v_dual_add_f32 v9, v9, v11 :: v_dual_add_f32 v6, v188, v14
	v_add_f32_e32 v22, v125, v26
	v_dual_add_f32 v26, v179, v29 :: v_dual_add_f32 v29, v126, v31
	v_dual_add_f32 v31, v180, v34 :: v_dual_add_f32 v34, v127, v36
	;; [unrolled: 1-line block ×4, first 2 shown]
	v_mul_f32_e32 v16, 0x3f52af12, v52
	v_fma_f32 v134, 0xbf788fa5, v50, -v134
	v_dual_add_f32 v37, v122, v55 :: v_dual_add_f32 v4, v47, v10
	v_add_f32_e32 v36, v181, v38
	s_delay_alu instid0(VALU_DEP_4)
	v_fma_f32 v14, 0x3f116cb1, v49, -v16
	v_add_f32_e32 v5, v9, v5
	v_fma_f32 v10, 0xbf3f9e67, v49, -v137
	v_fmac_f32_e32 v137, 0xbf3f9e67, v49
	v_add_f32_e32 v15, v182, v17
	v_add_f32_e32 v17, v129, v19
	;; [unrolled: 1-line block ×3, first 2 shown]
	v_dual_add_f32 v23, v130, v27 :: v_dual_fmac_f32 v16, 0x3f116cb1, v49
	v_dual_add_f32 v14, v14, v26 :: v_dual_add_f32 v7, v5, v7
	v_dual_mul_f32 v26, 0x3f7e222b, v52 :: v_dual_add_f32 v5, v187, v11
	v_mul_f32_e32 v11, 0xbf29c268, v51
	v_dual_add_f32 v32, v121, v35 :: v_dual_add_f32 v35, v175, v53
	v_dual_add_f32 v0, v133, v12 :: v_dual_add_f32 v21, v44, v21
	s_delay_alu instid0(VALU_DEP_3)
	v_fmamk_f32 v12, v50, 0xbf3f9e67, v11
	v_dual_add_f32 v38, v46, v20 :: v_dual_add_f32 v7, v7, v1
	v_add_f32_e32 v1, v134, v13
	v_fma_f32 v13, 0xbf3f9e67, v50, -v11
	v_mul_f32_e32 v20, 0xbf6f5d39, v52
	v_fma_f32 v136, 0x3f62ad3f, v50, -v136
	v_dual_add_f32 v11, v12, v19 :: v_dual_add_f32 v12, v137, v22
	s_delay_alu instid0(VALU_DEP_4) | instskip(NEXT) | instid1(VALU_DEP_4)
	v_add_f32_e32 v13, v13, v23
	v_fma_f32 v19, 0xbeb58ec6, v49, -v20
	v_dual_add_f32 v27, v184, v30 :: v_dual_add_f32 v30, v131, v32
	v_dual_add_f32 v32, v185, v35 :: v_dual_add_f32 v35, v132, v37
	v_mul_f32_e32 v22, 0x3f7e222b, v51
	v_fma_f32 v23, 0x3df6dbef, v49, -v26
	v_add_f32_e32 v37, v48, v21
	v_dual_fmac_f32 v26, 0x3df6dbef, v49 :: v_dual_add_f32 v3, v7, v3
	v_add_f32_e32 v7, v189, v15
	v_dual_mul_f32 v15, 0x3f52af12, v51 :: v_dual_add_f32 v10, v10, v18
	v_add_f32_e32 v9, v136, v17
	v_mul_f32_e32 v21, 0xbf6f5d39, v51
	v_fmac_f32_e32 v20, 0xbeb58ec6, v49
	s_delay_alu instid0(VALU_DEP_4) | instskip(SKIP_3) | instid1(VALU_DEP_4)
	v_fmamk_f32 v17, v50, 0x3f116cb1, v15
	v_fma_f32 v18, 0x3f116cb1, v50, -v15
	v_add_f32_e32 v33, v186, v33
	v_add_f32_e32 v16, v16, v29
	v_dual_add_f32 v20, v20, v34 :: v_dual_add_f32 v15, v17, v27
	s_delay_alu instid0(VALU_DEP_4)
	v_add_f32_e32 v17, v18, v30
	v_mul_u32_u24_e32 v30, 13, v106
	v_dual_add_f32 v18, v19, v31 :: v_dual_fmamk_f32 v19, v50, 0xbeb58ec6, v21
	v_fmamk_f32 v27, v50, 0x3df6dbef, v22
	v_fma_f32 v29, 0x3df6dbef, v50, -v22
	v_fma_f32 v21, 0xbeb58ec6, v50, -v21
	v_add_lshl_u32 v110, v109, v30, 3
	v_add_f32_e32 v19, v19, v32
	v_add_f32_e32 v22, v23, v36
	v_add_f32_e32 v23, v27, v33
	v_dual_add_f32 v26, v26, v37 :: v_dual_add_f32 v27, v29, v38
	v_add_f32_e32 v21, v21, v35
	ds_store_2addr_b64 v110, v[2:3], v[4:5] offset1:1
	ds_store_2addr_b64 v110, v[6:7], v[10:11] offset0:2 offset1:3
	ds_store_2addr_b64 v110, v[14:15], v[18:19] offset0:4 offset1:5
	;; [unrolled: 1-line block ×5, first 2 shown]
	ds_store_b64 v110, v[0:1] offset:96
	global_wb scope:SCOPE_SE
	s_wait_dscnt 0x0
	s_barrier_signal -1
	s_barrier_wait -1
	global_inv scope:SCOPE_SE
	ds_load_2addr_b64 v[4:7], v107 offset0:160 offset1:208
	ds_load_2addr_b64 v[8:11], v107 offset0:32 offset1:64
	;; [unrolled: 1-line block ×5, first 2 shown]
	ds_load_b64 v[26:27], v108
	ds_load_b64 v[29:30], v107 offset:2944
	v_or_b32_e32 v24, 0xc0, v106
	s_delay_alu instid0(VALU_DEP_1)
	v_cmp_gt_u64_e32 vcc_lo, 0xd0, v[24:25]
	s_and_saveexec_b32 s0, vcc_lo
	s_cbranch_execz .LBB0_3
; %bb.2:
	v_add_nc_u32_e32 v0, 0x600, v107
	ds_load_2addr_b64 v[0:3], v0 offset1:208
.LBB0_3:
	s_wait_alu 0xfffe
	s_or_b32 exec_lo, exec_lo, s0
	v_or_b32_e32 v25, 32, v106
	v_mul_lo_u16 v28, v106, 20
	v_or_b32_e32 v31, 64, v106
	v_or_b32_e32 v32, 0x60, v106
	;; [unrolled: 1-line block ×3, first 2 shown]
	v_mul_lo_u16 v34, v25, 20
	v_lshrrev_b16 v28, 8, v28
	v_mul_lo_u16 v37, 0x4f, v31
	v_mul_lo_u16 v38, 0x4f, v32
	v_or_b32_e32 v35, 0xa0, v106
	v_lshrrev_b16 v34, 8, v34
	v_mul_lo_u16 v41, v28, 13
	v_lshrrev_b16 v37, 10, v37
	v_lshrrev_b16 v38, 10, v38
	v_mul_lo_u16 v39, 0x4f, v33
	v_mul_lo_u16 v42, v34, 13
	v_sub_nc_u16 v41, v106, v41
	v_mul_lo_u16 v40, 0x4f, v35
	v_mul_lo_u16 v43, v38, 13
	;; [unrolled: 1-line block ×3, first 2 shown]
	v_sub_nc_u16 v25, v25, v42
	v_mul_lo_u16 v42, v37, 13
	v_and_b32_e32 v44, 0xff, v41
	v_lshrrev_b16 v39, 10, v39
	v_lshrrev_b16 v40, 10, v40
	v_and_b32_e32 v45, 0xff, v25
	v_sub_nc_u16 v31, v31, v42
	v_lshlrev_b32_e32 v42, 3, v44
	v_sub_nc_u16 v32, v32, v43
	v_lshrrev_b16 v36, 10, v36
	v_lshlrev_b32_e32 v43, 3, v45
	v_mul_lo_u16 v44, v39, 13
	global_load_b64 v[96:97], v42, s[10:11]
	v_mul_lo_u16 v45, v40, 13
	v_mul_lo_u16 v46, v36, 13
	global_load_b64 v[94:95], v43, s[10:11]
	v_and_b32_e32 v31, 0xff, v31
	v_and_b32_e32 v32, 0xff, v32
	v_sub_nc_u16 v33, v33, v44
	v_sub_nc_u16 v35, v35, v45
	;; [unrolled: 1-line block ×3, first 2 shown]
	v_lshlrev_b32_e32 v42, 3, v31
	v_lshlrev_b32_e32 v44, 3, v32
	v_and_b32_e32 v33, 0xff, v33
	v_mad_u16 v25, v34, 26, v25
	v_and_b32_e32 v111, 0xff, v24
	s_clause 0x1
	global_load_b64 v[92:93], v42, s[10:11]
	global_load_b64 v[90:91], v44, s[10:11]
	v_and_b32_e32 v35, 0xff, v35
	v_lshlrev_b32_e32 v24, 3, v33
	v_lshlrev_b32_e32 v43, 3, v111
	v_mad_u16 v28, v28, 26, v41
	s_delay_alu instid0(VALU_DEP_4)
	v_lshlrev_b32_e32 v42, 3, v35
	s_clause 0x2
	global_load_b64 v[88:89], v24, s[10:11]
	global_load_b64 v[86:87], v42, s[10:11]
	;; [unrolled: 1-line block ×3, first 2 shown]
	v_and_b32_e32 v25, 0xff, v25
	v_mul_lo_u16 v24, v37, 26
	v_and_b32_e32 v112, 0xffff, v36
	v_and_b32_e32 v36, 0xffff, v38
	v_and_b32_e32 v28, 0xff, v28
	v_add_lshl_u32 v118, v109, v25, 3
	global_wb scope:SCOPE_SE
	s_wait_loadcnt_dscnt 0x0
	s_barrier_signal -1
	s_barrier_wait -1
	v_add_lshl_u32 v116, v109, v28, 3
	global_inv scope:SCOPE_SE
	v_mul_f32_e32 v25, v6, v97
	s_delay_alu instid0(VALU_DEP_1) | instskip(SKIP_1) | instid1(VALU_DEP_1)
	v_fmac_f32_e32 v25, v7, v96
	v_and_b32_e32 v24, 0xffff, v24
	v_add_nc_u32_e32 v24, v24, v31
	s_delay_alu instid0(VALU_DEP_1) | instskip(SKIP_1) | instid1(VALU_DEP_1)
	v_add_lshl_u32 v117, v109, v24, 3
	v_dual_mul_f32 v24, v7, v97 :: v_dual_mul_f32 v7, v17, v95
	v_fma_f32 v6, v6, v96, -v24
	v_and_b32_e32 v37, 0xffff, v39
	v_dual_mul_f32 v24, v16, v95 :: v_dual_mul_f32 v39, v2, v85
	v_mul_u32_u24_e32 v34, 26, v36
	v_fma_f32 v7, v16, v94, -v7
	s_delay_alu instid0(VALU_DEP_3) | instskip(NEXT) | instid1(VALU_DEP_3)
	v_dual_fmac_f32 v24, v17, v94 :: v_dual_fmac_f32 v39, v3, v84
	v_add_nc_u32_e32 v28, v34, v32
	v_mul_f32_e32 v34, v23, v89
	s_delay_alu instid0(VALU_DEP_3) | instskip(NEXT) | instid1(VALU_DEP_4)
	v_dual_sub_f32 v48, v8, v7 :: v_dual_sub_f32 v49, v9, v24
	v_sub_f32_e32 v53, v1, v39
	s_delay_alu instid0(VALU_DEP_4) | instskip(SKIP_1) | instid1(VALU_DEP_1)
	v_add_lshl_u32 v115, v109, v28, 3
	v_mul_f32_e32 v28, v19, v93
	v_fma_f32 v16, v18, v92, -v28
	v_sub_f32_e32 v28, v26, v6
	v_mul_u32_u24_e32 v36, 26, v37
	s_delay_alu instid0(VALU_DEP_2) | instskip(NEXT) | instid1(VALU_DEP_2)
	v_fma_f32 v100, v26, 2.0, -v28
	v_add_nc_u32_e32 v31, v36, v33
	v_dual_mul_f32 v33, v20, v91 :: v_dual_and_b32 v38, 0xffff, v40
	s_delay_alu instid0(VALU_DEP_1) | instskip(NEXT) | instid1(VALU_DEP_2)
	v_dual_mul_f32 v36, v30, v87 :: v_dual_fmac_f32 v33, v21, v90
	v_mul_u32_u24_e32 v37, 26, v38
	v_mul_f32_e32 v38, v29, v87
	s_delay_alu instid0(VALU_DEP_3) | instskip(NEXT) | instid1(VALU_DEP_3)
	v_sub_f32_e32 v41, v13, v33
	v_dual_mul_f32 v35, v22, v89 :: v_dual_add_nc_u32 v32, v37, v35
	s_delay_alu instid0(VALU_DEP_3) | instskip(SKIP_1) | instid1(VALU_DEP_3)
	v_dual_mul_f32 v37, v3, v85 :: v_dual_fmac_f32 v38, v30, v86
	v_add_lshl_u32 v114, v109, v31, 3
	v_add_lshl_u32 v113, v109, v32, 3
	v_dual_mul_f32 v31, v18, v93 :: v_dual_mul_f32 v32, v21, v91
	v_fma_f32 v18, v22, v88, -v34
	v_fmac_f32_e32 v35, v23, v88
	v_fma_f32 v2, v2, v84, -v37
	s_delay_alu instid0(VALU_DEP_4) | instskip(SKIP_4) | instid1(VALU_DEP_4)
	v_fmac_f32_e32 v31, v19, v92
	v_fma_f32 v17, v20, v90, -v32
	v_fma_f32 v19, v29, v86, -v36
	v_dual_sub_f32 v29, v27, v25 :: v_dual_sub_f32 v44, v10, v16
	v_sub_f32_e32 v37, v15, v35
	v_dual_sub_f32 v45, v11, v31 :: v_dual_sub_f32 v40, v12, v17
	v_sub_f32_e32 v33, v5, v38
	v_sub_f32_e32 v36, v14, v18
	;; [unrolled: 1-line block ×4, first 2 shown]
	v_fma_f32 v101, v27, 2.0, -v29
	v_fma_f32 v30, v8, 2.0, -v48
	;; [unrolled: 1-line block ×13, first 2 shown]
	ds_store_2addr_b64 v116, v[100:101], v[28:29] offset1:13
	ds_store_2addr_b64 v118, v[30:31], v[48:49] offset1:13
	;; [unrolled: 1-line block ×6, first 2 shown]
	s_and_saveexec_b32 s0, vcc_lo
	s_cbranch_execz .LBB0_5
; %bb.4:
	v_mul_u32_u24_e32 v0, 26, v112
	s_delay_alu instid0(VALU_DEP_1) | instskip(NEXT) | instid1(VALU_DEP_1)
	v_add_nc_u32_e32 v0, v0, v111
	v_add_lshl_u32 v0, v109, v0, 3
	ds_store_2addr_b64 v0, v[34:35], v[52:53] offset1:13
.LBB0_5:
	s_wait_alu 0xfffe
	s_or_b32 exec_lo, exec_lo, s0
	v_add_co_u32 v102, s0, s8, v56
	s_wait_alu 0xf1ff
	v_add_co_ci_u32_e64 v103, null, s9, 0, s0
	v_cmp_gt_u32_e64 s0, 26, v106
	global_wb scope:SCOPE_SE
	s_wait_dscnt 0x0
	s_barrier_signal -1
	s_barrier_wait -1
	global_inv scope:SCOPE_SE
                                        ; implicit-def: $vgpr104
	s_and_saveexec_b32 s1, s0
	s_cbranch_execz .LBB0_7
; %bb.6:
	v_add_nc_u32_e32 v0, 0x400, v107
	v_add_nc_u32_e32 v1, 0x800, v107
	ds_load_2addr_b64 v[28:31], v107 offset0:26 offset1:52
	ds_load_2addr_b64 v[48:51], v107 offset0:78 offset1:104
	;; [unrolled: 1-line block ×7, first 2 shown]
	ds_load_b64 v[100:101], v108
	ds_load_b64 v[104:105], v107 offset:3120
.LBB0_7:
	s_wait_alu 0xfffe
	s_or_b32 exec_lo, exec_lo, s1
	v_subrev_nc_u32_e32 v0, 26, v106
	s_delay_alu instid0(VALU_DEP_1) | instskip(NEXT) | instid1(VALU_DEP_1)
	v_cndmask_b32_e64 v0, v0, v106, s0
	v_mul_i32_i24_e32 v1, 0x78, v0
	v_mul_hi_i32_i24_e32 v0, 0x78, v0
	s_delay_alu instid0(VALU_DEP_2) | instskip(SKIP_1) | instid1(VALU_DEP_2)
	v_add_co_u32 v98, s1, s10, v1
	s_wait_alu 0xf1ff
	v_add_co_ci_u32_e64 v99, s1, s11, v0, s1
	s_clause 0x7
	global_load_b128 v[8:11], v[98:99], off offset:104
	global_load_b128 v[4:7], v[98:99], off offset:120
	;; [unrolled: 1-line block ×7, first 2 shown]
	global_load_b64 v[98:99], v[98:99], off offset:216
	s_wait_loadcnt_dscnt 0x708
	v_dual_mul_f32 v119, v29, v9 :: v_dual_mul_f32 v122, v30, v11
	v_dual_mul_f32 v120, v28, v9 :: v_dual_mul_f32 v121, v31, v11
	s_wait_loadcnt_dscnt 0x304
	v_dual_mul_f32 v135, v37, v21 :: v_dual_mul_f32 v138, v38, v23
	v_dual_mul_f32 v127, v45, v13 :: v_dual_mul_f32 v130, v46, v15
	;; [unrolled: 1-line block ×6, first 2 shown]
	s_wait_loadcnt_dscnt 0x102
	v_dual_mul_f32 v144, v52, v25 :: v_dual_mul_f32 v145, v55, v27
	s_wait_loadcnt_dscnt 0x0
	v_dual_mul_f32 v147, v105, v99 :: v_dual_fmac_f32 v122, v31, v10
	v_fma_f32 v28, v28, v8, -v119
	v_fma_f32 v36, v36, v20, -v135
	v_fmac_f32_e32 v138, v39, v22
	v_dual_mul_f32 v124, v48, v5 :: v_dual_mul_f32 v125, v51, v7
	v_dual_mul_f32 v140, v32, v17 :: v_dual_mul_f32 v141, v35, v19
	;; [unrolled: 1-line block ×3, first 2 shown]
	v_fmac_f32_e32 v128, v45, v12
	v_sub_f32_e32 v36, v28, v36
	v_dual_fmac_f32 v144, v53, v24 :: v_dual_sub_f32 v53, v122, v138
	v_fmac_f32_e32 v130, v47, v14
	v_fma_f32 v47, v40, v0, -v131
	v_fma_f32 v40, v42, v2, -v133
	v_dual_mul_f32 v123, v49, v5 :: v_dual_mul_f32 v126, v50, v7
	v_dual_mul_f32 v139, v33, v17 :: v_dual_mul_f32 v142, v34, v19
	v_fma_f32 v31, v50, v6, -v125
	v_fma_f32 v44, v44, v12, -v127
	v_fmac_f32_e32 v146, v55, v26
	v_sub_f32_e32 v42, v100, v40
	v_fmac_f32_e32 v140, v33, v16
	v_fma_f32 v33, v34, v18, -v141
	v_fmac_f32_e32 v120, v29, v8
	v_fma_f32 v29, v30, v10, -v121
	v_fma_f32 v34, v52, v24, -v143
	v_fmac_f32_e32 v136, v37, v20
	v_fma_f32 v37, v38, v22, -v137
	v_fma_f32 v46, v46, v14, -v129
	v_sub_f32_e32 v55, v128, v144
	v_fmac_f32_e32 v132, v41, v0
	v_fma_f32 v30, v48, v4, -v123
	v_dual_sub_f32 v52, v29, v37 :: v_dual_sub_f32 v37, v130, v146
	v_fmac_f32_e32 v142, v35, v18
	v_fma_f32 v35, v54, v26, -v145
	v_fmac_f32_e32 v126, v51, v6
	v_fma_f32 v32, v32, v16, -v139
	v_sub_f32_e32 v39, v31, v33
	v_sub_f32_e32 v125, v52, v37
	v_dual_sub_f32 v35, v46, v35 :: v_dual_fmac_f32 v124, v49, v4
	v_sub_f32_e32 v33, v126, v142
	v_fmac_f32_e32 v134, v43, v2
	v_mul_f32_e32 v148, v104, v99
	v_fma_f32 v38, v104, v98, -v147
	v_fma_f32 v40, v29, 2.0, -v52
	v_fma_f32 v29, v46, 2.0, -v35
	v_dual_sub_f32 v51, v101, v134 :: v_dual_sub_f32 v104, v30, v32
	v_fmac_f32_e32 v148, v105, v98
	v_sub_f32_e32 v32, v47, v38
	v_sub_f32_e32 v41, v44, v34
	v_fma_f32 v38, v100, 2.0, -v42
	v_fma_f32 v31, v31, 2.0, -v39
	v_sub_f32_e32 v119, v132, v148
	v_fma_f32 v45, v101, 2.0, -v51
	v_fma_f32 v100, v126, 2.0, -v33
	v_fma_f32 v101, v130, 2.0, -v37
	v_sub_f32_e32 v37, v38, v31
	v_fma_f32 v121, v132, 2.0, -v119
	v_sub_f32_e32 v129, v104, v119
	v_sub_f32_e32 v119, v40, v29
	v_fma_f32 v50, v30, 2.0, -v104
	v_fma_f32 v30, v47, 2.0, -v32
	v_dual_sub_f32 v33, v42, v33 :: v_dual_sub_f32 v54, v120, v136
	v_sub_f32_e32 v105, v124, v140
	v_fma_f32 v48, v122, 2.0, -v53
	s_delay_alu instid0(VALU_DEP_4)
	v_sub_f32_e32 v127, v50, v30
	v_fma_f32 v49, v28, 2.0, -v36
	v_fma_f32 v28, v44, 2.0, -v41
	;; [unrolled: 1-line block ×5, first 2 shown]
	s_delay_alu instid0(VALU_DEP_4) | instskip(SKIP_1) | instid1(VALU_DEP_3)
	v_dual_add_f32 v34, v51, v39 :: v_dual_sub_f32 v47, v49, v28
	v_add_f32_e32 v130, v105, v32
	v_dual_add_f32 v128, v53, v35 :: v_dual_sub_f32 v121, v44, v121
	s_delay_alu instid0(VALU_DEP_3) | instskip(SKIP_2) | instid1(VALU_DEP_4)
	v_fma_f32 v35, v51, 2.0, -v34
	v_sub_f32_e32 v39, v36, v55
	v_fma_f32 v32, v42, 2.0, -v33
	v_fma_f32 v31, v53, 2.0, -v128
	v_fmamk_f32 v53, v125, 0x3f3504f3, v33
	v_add_f32_e32 v41, v54, v41
	v_sub_f32_e32 v51, v43, v120
	v_fma_f32 v29, v52, 2.0, -v125
	v_fmamk_f32 v55, v31, 0xbf3504f3, v35
	v_fma_f32 v30, v105, 2.0, -v130
	v_fmamk_f32 v123, v130, 0x3f3504f3, v41
	v_fma_f32 v42, v54, 2.0, -v41
	v_sub_f32_e32 v46, v45, v100
	v_fma_f32 v28, v104, 2.0, -v129
	v_fmamk_f32 v104, v128, 0x3f3504f3, v34
	v_fma_f32 v36, v36, 2.0, -v39
	v_fmamk_f32 v105, v30, 0xbf3504f3, v42
	v_dual_add_f32 v126, v46, v119 :: v_dual_fmac_f32 v55, 0x3f3504f3, v29
	s_delay_alu instid0(VALU_DEP_4) | instskip(SKIP_1) | instid1(VALU_DEP_4)
	v_fmac_f32_e32 v104, 0x3f3504f3, v125
	v_dual_sub_f32 v124, v48, v101 :: v_dual_fmac_f32 v53, 0xbf3504f3, v128
	v_fmac_f32_e32 v105, 0x3f3504f3, v28
	v_fmamk_f32 v52, v29, 0xbf3504f3, v32
	v_fmamk_f32 v54, v28, 0xbf3504f3, v36
	v_add_f32_e32 v128, v51, v127
	v_dual_sub_f32 v120, v37, v124 :: v_dual_fmac_f32 v123, 0x3f3504f3, v129
	v_fmamk_f32 v29, v105, 0x3ec3ef15, v55
	v_dual_fmamk_f32 v122, v129, 0x3f3504f3, v39 :: v_dual_sub_f32 v125, v47, v121
	v_fmac_f32_e32 v52, 0xbf3504f3, v31
	v_fmamk_f32 v31, v128, 0x3f3504f3, v126
	v_fmac_f32_e32 v54, 0xbf3504f3, v30
	s_delay_alu instid0(VALU_DEP_4)
	v_fmac_f32_e32 v122, 0xbf3504f3, v130
	v_fmamk_f32 v30, v125, 0x3f3504f3, v120
	v_fmamk_f32 v101, v123, 0x3f6c835e, v104
	v_fmac_f32_e32 v31, 0x3f3504f3, v125
	v_fmamk_f32 v28, v54, 0x3ec3ef15, v52
	v_fmamk_f32 v100, v122, 0x3f6c835e, v53
	v_fmac_f32_e32 v30, 0xbf3504f3, v128
	v_fmac_f32_e32 v29, 0x3f6c835e, v54
	;; [unrolled: 1-line block ×5, first 2 shown]
	s_and_saveexec_b32 s1, s0
	s_cbranch_execz .LBB0_9
; %bb.8:
	v_fma_f32 v131, v45, 2.0, -v46
	v_fma_f32 v45, v48, 2.0, -v124
	;; [unrolled: 1-line block ×6, first 2 shown]
	v_sub_f32_e32 v127, v131, v45
	v_fma_f32 v119, v43, 2.0, -v51
	v_sub_f32_e32 v50, v124, v50
	v_fma_f32 v45, v44, 2.0, -v121
	v_fma_f32 v130, v104, 2.0, -v101
	;; [unrolled: 1-line block ×5, first 2 shown]
	v_sub_f32_e32 v133, v119, v45
	v_fma_f32 v104, v34, 2.0, -v104
	v_fma_f32 v41, v41, 2.0, -v123
	v_fma_f32 v51, v39, 2.0, -v122
	v_fmamk_f32 v34, v128, 0xbf3504f3, v126
	v_fma_f32 v122, v33, 2.0, -v53
	v_fma_f32 v129, v53, 2.0, -v100
	;; [unrolled: 1-line block ×3, first 2 shown]
	v_dual_sub_f32 v121, v132, v38 :: v_dual_fmamk_f32 v46, v41, 0xbec3ef15, v104
	v_fma_f32 v33, v47, 2.0, -v125
	v_fma_f32 v47, v35, 2.0, -v55
	;; [unrolled: 1-line block ×7, first 2 shown]
	v_fmamk_f32 v45, v51, 0xbec3ef15, v122
	v_fma_f32 v37, v37, 2.0, -v120
	v_fma_f32 v54, v132, 2.0, -v121
	v_dual_add_f32 v40, v127, v50 :: v_dual_sub_f32 v39, v121, v133
	s_delay_alu instid0(VALU_DEP_4)
	v_dual_sub_f32 v36, v52, v36 :: v_dual_fmac_f32 v45, 0xbf6c835e, v41
	v_fma_f32 v41, v124, 2.0, -v50
	v_fmamk_f32 v50, v35, 0xbf6c835e, v32
	v_fmac_f32_e32 v46, 0x3f6c835e, v51
	v_fmamk_f32 v51, v53, 0xbf6c835e, v47
	v_fmac_f32_e32 v34, 0x3f3504f3, v33
	;; [unrolled: 2-line block ×3, first 2 shown]
	v_fma_f32 v44, v55, 2.0, -v29
	v_fmac_f32_e32 v51, 0x3ec3ef15, v35
	v_sub_f32_e32 v35, v54, v41
	v_fmac_f32_e32 v33, 0xbf3504f3, v128
	v_fma_f32 v55, v52, 2.0, -v36
	v_fma_f32 v38, v127, 2.0, -v40
	;; [unrolled: 1-line block ×11, first 2 shown]
	v_add_nc_u32_e32 v32, 0x400, v107
	ds_store_b64 v108, v[54:55]
	ds_store_2addr_b64 v107, v[52:53], v[41:42] offset0:26 offset1:52
	v_add_nc_u32_e32 v41, 0x800, v107
	ds_store_2addr_b64 v107, v[104:105], v[37:38] offset0:78 offset1:104
	ds_store_2addr_b64 v107, v[43:44], v[48:49] offset0:130 offset1:156
	;; [unrolled: 1-line block ×6, first 2 shown]
	ds_store_b64 v107, v[100:101] offset:3120
.LBB0_9:
	s_wait_alu 0xfffe
	s_or_b32 exec_lo, exec_lo, s1
	global_wb scope:SCOPE_SE
	s_wait_dscnt 0x0
	s_barrier_signal -1
	s_barrier_wait -1
	global_inv scope:SCOPE_SE
	global_load_b64 v[32:33], v[102:103], off offset:3328
	s_add_nc_u64 s[8:9], s[8:9], 0xd00
	s_clause 0xb
	global_load_b64 v[52:53], v56, s[8:9] offset:256
	global_load_b64 v[54:55], v56, s[8:9] offset:512
	;; [unrolled: 1-line block ×12, first 2 shown]
	ds_load_b64 v[34:35], v108
	v_lshlrev_b32_e32 v105, 3, v109
	v_add_nc_u32_e32 v109, 0x800, v107
	s_delay_alu instid0(VALU_DEP_2) | instskip(SKIP_3) | instid1(VALU_DEP_2)
	v_add_nc_u32_e32 v104, v105, v56
	s_wait_loadcnt_dscnt 0xc00
	v_mul_f32_e32 v36, v35, v33
	v_mul_f32_e32 v37, v34, v33
	v_fma_f32 v36, v34, v32, -v36
	s_delay_alu instid0(VALU_DEP_2)
	v_fmac_f32_e32 v37, v35, v32
	ds_store_b64 v108, v[36:37]
	ds_load_2addr_b64 v[32:35], v107 offset0:32 offset1:64
	ds_load_2addr_b64 v[36:39], v107 offset0:96 offset1:128
	;; [unrolled: 1-line block ×3, first 2 shown]
	ds_load_b64 v[137:138], v104 offset:1536
	ds_load_2addr_b64 v[44:47], v109 offset1:32
	ds_load_2addr_b64 v[48:51], v109 offset0:64 offset1:96
	ds_load_b64 v[139:140], v107 offset:3072
	s_wait_loadcnt_dscnt 0xb06
	v_mul_f32_e32 v56, v32, v53
	s_wait_loadcnt_dscnt 0x905
	v_dual_mul_f32 v141, v33, v53 :: v_dual_mul_f32 v142, v36, v103
	s_wait_loadcnt_dscnt 0x704
	v_dual_mul_f32 v143, v35, v55 :: v_dual_mul_f32 v146, v41, v122
	v_mul_f32_e32 v53, v34, v55
	v_dual_mul_f32 v144, v37, v103 :: v_dual_mul_f32 v145, v39, v120
	s_wait_loadcnt 0x5
	v_dual_mul_f32 v103, v38, v120 :: v_dual_mul_f32 v148, v43, v126
	s_wait_dscnt 0x3
	v_dual_mul_f32 v120, v40, v122 :: v_dual_mul_f32 v147, v138, v124
	s_wait_loadcnt_dscnt 0x302
	v_mul_f32_e32 v150, v47, v130
	v_dual_mul_f32 v122, v137, v124 :: v_dual_fmac_f32 v53, v35, v54
	v_dual_mul_f32 v124, v42, v126 :: v_dual_mul_f32 v149, v45, v128
	v_dual_mul_f32 v126, v44, v128 :: v_dual_fmac_f32 v103, v39, v119
	s_wait_loadcnt_dscnt 0x201
	v_dual_mul_f32 v128, v46, v130 :: v_dual_mul_f32 v151, v49, v132
	s_wait_loadcnt 0x1
	v_mul_f32_e32 v152, v51, v134
	v_mul_f32_e32 v130, v48, v132
	s_wait_loadcnt_dscnt 0x0
	v_dual_mul_f32 v132, v50, v134 :: v_dual_mul_f32 v153, v140, v136
	v_mul_f32_e32 v134, v139, v136
	v_fma_f32 v55, v32, v52, -v141
	v_fmac_f32_e32 v56, v33, v52
	v_fma_f32 v52, v34, v54, -v143
	v_fma_f32 v141, v36, v102, -v144
	v_fmac_f32_e32 v142, v37, v102
	v_fma_f32 v102, v38, v119, -v145
	;; [unrolled: 3-line block ×3, first 2 shown]
	v_fmac_f32_e32 v122, v138, v123
	v_fma_f32 v123, v42, v125, -v148
	v_fmac_f32_e32 v124, v43, v125
	v_fma_f32 v125, v44, v127, -v149
	;; [unrolled: 2-line block ×6, first 2 shown]
	v_fmac_f32_e32 v134, v140, v135
	ds_store_2addr_b64 v107, v[55:56], v[52:53] offset0:32 offset1:64
	ds_store_2addr_b64 v107, v[141:142], v[102:103] offset0:96 offset1:128
	ds_store_2addr_b64 v107, v[119:120], v[123:124] offset0:160 offset1:224
	ds_store_2addr_b64 v109, v[125:126], v[127:128] offset1:32
	ds_store_2addr_b64 v109, v[129:130], v[131:132] offset0:64 offset1:96
	ds_store_b64 v104, v[121:122] offset:1536
	ds_store_b64 v107, v[133:134] offset:3072
	global_wb scope:SCOPE_SE
	s_wait_dscnt 0x0
	s_barrier_signal -1
	s_barrier_wait -1
	global_inv scope:SCOPE_SE
	ds_load_b64 v[52:53], v108
	ds_load_2addr_b64 v[119:122], v107 offset0:32 offset1:64
	ds_load_b64 v[50:51], v107 offset:3072
	ds_load_2addr_b64 v[36:39], v109 offset0:64 offset1:96
	ds_load_2addr_b64 v[44:47], v107 offset0:96 offset1:128
	ds_load_2addr_b64 v[40:43], v109 offset1:32
	ds_load_2addr_b64 v[32:35], v107 offset0:160 offset1:224
	ds_load_b64 v[48:49], v104 offset:1536
	global_wb scope:SCOPE_SE
	s_wait_dscnt 0x0
	s_barrier_signal -1
	s_barrier_wait -1
	global_inv scope:SCOPE_SE
	v_dual_add_f32 v54, v52, v119 :: v_dual_add_f32 v55, v53, v120
	v_add_f32_e32 v56, v50, v119
	v_add_f32_e32 v102, v51, v120
	v_sub_f32_e32 v103, v119, v50
	v_sub_f32_e32 v137, v33, v41
	;; [unrolled: 1-line block ×3, first 2 shown]
	v_dual_add_f32 v123, v39, v122 :: v_dual_add_f32 v120, v38, v121
	v_dual_sub_f32 v133, v47, v43 :: v_dual_sub_f32 v124, v121, v38
	v_dual_sub_f32 v125, v122, v39 :: v_dual_add_f32 v126, v36, v44
	v_mul_f32_e32 v145, 0xbf3f9e67, v102
	v_add_f32_e32 v127, v37, v45
	v_sub_f32_e32 v129, v45, v37
	v_dual_add_f32 v131, v43, v47 :: v_dual_sub_f32 v136, v32, v40
	v_dual_mul_f32 v155, 0x3df6dbef, v123 :: v_dual_add_f32 v54, v54, v121
	v_add_f32_e32 v55, v55, v122
	v_mul_f32_e32 v121, 0xbeedf032, v119
	v_dual_mul_f32 v122, 0x3f62ad3f, v102 :: v_dual_mul_f32 v163, 0x3f62ad3f, v127
	s_delay_alu instid0(VALU_DEP_3)
	v_dual_mul_f32 v138, 0xbf52af12, v119 :: v_dual_add_f32 v45, v55, v45
	v_mul_f32_e32 v139, 0x3f116cb1, v102
	v_mul_f32_e32 v140, 0xbf7e222b, v119
	;; [unrolled: 1-line block ×5, first 2 shown]
	v_dual_mul_f32 v119, 0xbe750f2a, v119 :: v_dual_sub_f32 v128, v44, v36
	v_dual_mul_f32 v147, 0x3f116cb1, v123 :: v_dual_add_f32 v130, v42, v46
	v_dual_mul_f32 v149, 0xbeb58ec6, v123 :: v_dual_sub_f32 v132, v46, v42
	v_dual_mul_f32 v151, 0xbf788fa5, v123 :: v_dual_add_f32 v134, v40, v32
	v_mul_f32_e32 v153, 0xbf3f9e67, v123
	v_add_f32_e32 v135, v41, v33
	v_mul_f32_e32 v143, 0xbeb58ec6, v102
	v_dual_mul_f32 v102, 0xbf788fa5, v102 :: v_dual_mul_f32 v159, 0xbf788fa5, v127
	v_mul_f32_e32 v146, 0xbf52af12, v125
	v_mul_f32_e32 v148, 0xbf6f5d39, v125
	v_mul_f32_e32 v150, 0xbe750f2a, v125
	v_dual_mul_f32 v152, 0x3f29c268, v125 :: v_dual_fmamk_f32 v193, v103, 0x3f29c268, v145
	v_dual_mul_f32 v154, 0x3f7e222b, v125 :: v_dual_fmamk_f32 v189, v103, 0x3f7e222b, v141
	v_mul_f32_e32 v123, 0x3f62ad3f, v123
	v_dual_mul_f32 v125, 0x3eedf032, v125 :: v_dual_add_f32 v44, v54, v44
	v_dual_mul_f32 v156, 0xbf7e222b, v129 :: v_dual_fmac_f32 v141, 0xbf7e222b, v103
	v_mul_f32_e32 v158, 0xbe750f2a, v129
	v_dual_mul_f32 v160, 0x3f6f5d39, v129 :: v_dual_fmamk_f32 v191, v103, 0x3f6f5d39, v143
	v_dual_mul_f32 v162, 0x3eedf032, v129 :: v_dual_fmamk_f32 v55, v103, 0x3eedf032, v122
	v_mul_f32_e32 v164, 0xbf52af12, v129
	v_dual_mul_f32 v165, 0x3f116cb1, v127 :: v_dual_fmamk_f32 v186, v56, 0x3f116cb1, v138
	v_mul_f32_e32 v129, 0xbf29c268, v129
	v_mul_f32_e32 v168, 0x3f29c268, v133
	;; [unrolled: 1-line block ×3, first 2 shown]
	v_dual_mul_f32 v171, 0x3f62ad3f, v131 :: v_dual_fmamk_f32 v54, v56, 0x3f62ad3f, v121
	v_dual_mul_f32 v174, 0x3e750f2a, v133 :: v_dual_fmamk_f32 v195, v103, 0x3e750f2a, v102
	;; [unrolled: 1-line block ×3, first 2 shown]
	v_dual_mul_f32 v176, 0xbf29c268, v137 :: v_dual_fmac_f32 v145, 0xbf29c268, v103
	v_mul_f32_e32 v178, 0x3f7e222b, v137
	v_mul_f32_e32 v180, 0xbf52af12, v137
	v_dual_mul_f32 v182, 0x3e750f2a, v137 :: v_dual_fmamk_f32 v199, v124, 0x3e750f2a, v151
	v_mul_f32_e32 v184, 0x3eedf032, v137
	v_mul_f32_e32 v137, 0xbf6f5d39, v137
	v_dual_mul_f32 v161, 0xbeb58ec6, v127 :: v_dual_fmamk_f32 v190, v56, 0xbeb58ec6, v142
	v_fma_f32 v121, 0x3f62ad3f, v56, -v121
	v_dual_fmac_f32 v122, 0xbeedf032, v103 :: v_dual_fmamk_f32 v205, v124, 0xbeedf032, v123
	v_fmamk_f32 v187, v103, 0x3f52af12, v139
	v_fmac_f32_e32 v139, 0xbf52af12, v103
	v_fmamk_f32 v192, v56, 0xbf3f9e67, v144
	v_fma_f32 v144, 0xbf3f9e67, v56, -v144
	v_fmamk_f32 v203, v124, 0xbf7e222b, v155
	v_dual_mul_f32 v157, 0x3df6dbef, v127 :: v_dual_fmamk_f32 v188, v56, 0x3df6dbef, v140
	v_mul_f32_e32 v127, 0xbf3f9e67, v127
	v_mul_f32_e32 v172, 0xbf7e222b, v133
	v_fma_f32 v140, 0x3df6dbef, v56, -v140
	v_mul_f32_e32 v166, 0xbf6f5d39, v133
	v_dual_mul_f32 v169, 0xbf3f9e67, v131 :: v_dual_fmamk_f32 v200, v120, 0xbf3f9e67, v152
	v_dual_mul_f32 v173, 0x3df6dbef, v131 :: v_dual_fmamk_f32 v202, v120, 0x3df6dbef, v154
	v_dual_mul_f32 v133, 0x3f52af12, v133 :: v_dual_add_f32 v44, v44, v46
	v_dual_mul_f32 v185, 0x3f62ad3f, v135 :: v_dual_fmamk_f32 v204, v120, 0x3f62ad3f, v125
	v_fma_f32 v138, 0x3f116cb1, v56, -v138
	v_fma_f32 v142, 0xbeb58ec6, v56, -v142
	v_fmac_f32_e32 v143, 0xbf6f5d39, v103
	v_dual_mul_f32 v167, 0xbeb58ec6, v131 :: v_dual_fmamk_f32 v196, v120, 0xbeb58ec6, v148
	v_fma_f32 v56, 0xbf788fa5, v56, -v119
	v_dual_fmac_f32 v102, 0xbe750f2a, v103 :: v_dual_fmamk_f32 v223, v132, 0xbe750f2a, v175
	v_fma_f32 v148, 0xbeb58ec6, v120, -v148
	v_fmac_f32_e32 v151, 0xbe750f2a, v124
	v_dual_mul_f32 v183, 0xbf788fa5, v135 :: v_dual_fmamk_f32 v198, v120, 0xbf788fa5, v150
	v_fma_f32 v150, 0xbf788fa5, v120, -v150
	v_fma_f32 v152, 0xbf3f9e67, v120, -v152
	;; [unrolled: 1-line block ×3, first 2 shown]
	v_fmac_f32_e32 v155, 0x3f7e222b, v124
	v_fmac_f32_e32 v123, 0x3eedf032, v124
	v_fmamk_f32 v210, v126, 0x3f62ad3f, v162
	v_fmamk_f32 v218, v130, 0x3f62ad3f, v170
	;; [unrolled: 1-line block ×3, first 2 shown]
	v_fmac_f32_e32 v175, 0x3e750f2a, v132
	v_dual_fmamk_f32 v226, v134, 0x3df6dbef, v178 :: v_dual_add_f32 v141, v53, v141
	v_dual_add_f32 v45, v45, v47 :: v_dual_add_f32 v46, v52, v54
	v_fmamk_f32 v103, v120, 0x3f116cb1, v146
	v_fma_f32 v146, 0x3f116cb1, v120, -v146
	v_fma_f32 v120, 0x3f62ad3f, v120, -v125
	v_fmamk_f32 v125, v128, 0x3f7e222b, v157
	v_fmac_f32_e32 v157, 0xbf7e222b, v128
	v_dual_fmamk_f32 v220, v130, 0x3df6dbef, v172 :: v_dual_add_f32 v139, v53, v139
	v_dual_add_f32 v47, v53, v55 :: v_dual_add_f32 v54, v52, v121
	v_fmamk_f32 v197, v124, 0x3f6f5d39, v149
	v_fmac_f32_e32 v149, 0xbf6f5d39, v124
	v_fmamk_f32 v201, v124, 0xbf29c268, v153
	v_fmac_f32_e32 v153, 0x3f29c268, v124
	v_dual_fmamk_f32 v216, v130, 0xbf3f9e67, v168 :: v_dual_add_f32 v55, v53, v122
	v_dual_add_f32 v121, v52, v186 :: v_dual_add_f32 v122, v53, v187
	v_dual_add_f32 v186, v52, v188 :: v_dual_add_f32 v187, v53, v189
	;; [unrolled: 1-line block ×3, first 2 shown]
	v_add_f32_e32 v188, v52, v190
	v_add_f32_e32 v190, v52, v192
	v_fmamk_f32 v207, v128, 0x3e750f2a, v159
	v_fmac_f32_e32 v159, 0xbe750f2a, v128
	v_fmamk_f32 v206, v126, 0xbf788fa5, v158
	v_add_f32_e32 v144, v52, v144
	v_fmamk_f32 v209, v128, 0xbf6f5d39, v161
	v_dual_fmac_f32 v161, 0x3f6f5d39, v128 :: v_dual_add_f32 v192, v52, v194
	v_dual_mul_f32 v177, 0xbf3f9e67, v135 :: v_dual_fmamk_f32 v214, v126, 0xbf3f9e67, v129
	v_fmamk_f32 v119, v124, 0x3f52af12, v147
	v_dual_fmamk_f32 v230, v134, 0xbf788fa5, v182 :: v_dual_add_f32 v189, v53, v191
	v_dual_fmamk_f32 v234, v134, 0xbeb58ec6, v137 :: v_dual_add_f32 v143, v53, v143
	v_add_f32_e32 v138, v52, v138
	v_dual_add_f32 v142, v52, v142 :: v_dual_add_f32 v191, v53, v193
	v_dual_add_f32 v193, v53, v195 :: v_dual_add_f32 v52, v52, v56
	;; [unrolled: 1-line block ×3, first 2 shown]
	v_add_f32_e32 v44, v103, v46
	v_add_f32_e32 v46, v146, v54
	;; [unrolled: 1-line block ×4, first 2 shown]
	v_fmamk_f32 v215, v128, 0x3f29c268, v127
	v_fmac_f32_e32 v127, 0xbf29c268, v128
	v_dual_add_f32 v145, v155, v145 :: v_dual_add_f32 v146, v204, v192
	v_fmamk_f32 v219, v132, 0xbeedf032, v171
	v_fmac_f32_e32 v171, 0x3eedf032, v132
	v_mul_f32_e32 v179, 0x3df6dbef, v135
	v_dual_mul_f32 v181, 0x3f116cb1, v135 :: v_dual_fmamk_f32 v224, v130, 0x3f116cb1, v133
	v_dual_mul_f32 v135, 0xbeb58ec6, v135 :: v_dual_fmamk_f32 v208, v126, 0xbeb58ec6, v160
	v_fmac_f32_e32 v147, 0xbf52af12, v124
	v_dual_mul_f32 v131, 0x3f116cb1, v131 :: v_dual_fmamk_f32 v212, v126, 0x3f116cb1, v164
	v_fmamk_f32 v124, v126, 0x3df6dbef, v156
	v_fma_f32 v156, 0x3df6dbef, v126, -v156
	v_fma_f32 v158, 0xbf788fa5, v126, -v158
	;; [unrolled: 1-line block ×6, first 2 shown]
	v_dual_add_f32 v103, v198, v186 :: v_dual_add_f32 v52, v120, v52
	v_add_f32_e32 v53, v123, v53
	v_fma_f32 v168, 0xbf3f9e67, v130, -v168
	v_fma_f32 v170, 0x3f62ad3f, v130, -v170
	s_delay_alu instid0(VALU_DEP_4)
	v_dual_fmamk_f32 v221, v132, 0x3f7e222b, v173 :: v_dual_add_f32 v52, v126, v52
	v_fma_f32 v172, 0x3df6dbef, v130, -v172
	v_dual_fmac_f32 v173, 0xbf7e222b, v132 :: v_dual_add_f32 v56, v148, v138
	v_fmamk_f32 v213, v128, 0x3f52af12, v165
	v_fmac_f32_e32 v165, 0xbf52af12, v128
	v_fma_f32 v174, 0xbf788fa5, v130, -v174
	v_dual_fmamk_f32 v228, v134, 0x3f116cb1, v180 :: v_dual_add_f32 v33, v45, v33
	v_add_f32_e32 v45, v119, v47
	v_dual_add_f32 v47, v147, v55 :: v_dual_add_f32 v54, v196, v121
	v_fmamk_f32 v211, v128, 0xbeedf032, v163
	v_fmac_f32_e32 v163, 0x3eedf032, v128
	v_fmamk_f32 v128, v130, 0xbeb58ec6, v166
	v_fma_f32 v166, 0xbeb58ec6, v130, -v166
	v_fma_f32 v130, 0x3f116cb1, v130, -v133
	v_dual_fmamk_f32 v232, v134, 0x3f62ad3f, v184 :: v_dual_add_f32 v55, v197, v122
	v_fmamk_f32 v233, v136, 0xbeedf032, v185
	v_fmac_f32_e32 v185, 0x3eedf032, v136
	v_dual_add_f32 v121, v150, v140 :: v_dual_add_f32 v122, v151, v141
	v_dual_add_f32 v138, v200, v188 :: v_dual_add_f32 v141, v153, v143
	v_fmamk_f32 v129, v132, 0x3f6f5d39, v167
	v_dual_fmac_f32 v167, 0xbf6f5d39, v132 :: v_dual_add_f32 v140, v152, v142
	v_fmamk_f32 v217, v132, 0xbf29c268, v169
	v_dual_fmac_f32 v169, 0x3f29c268, v132 :: v_dual_add_f32 v46, v156, v46
	;; [unrolled: 2-line block ×3, first 2 shown]
	v_dual_fmamk_f32 v132, v134, 0xbf3f9e67, v176 :: v_dual_add_f32 v143, v203, v191
	v_add_f32_e32 v32, v32, v48
	s_delay_alu instid0(VALU_DEP_3) | instskip(SKIP_1) | instid1(VALU_DEP_3)
	v_dual_fmamk_f32 v227, v136, 0xbf7e222b, v179 :: v_dual_add_f32 v120, v170, v120
	v_fmac_f32_e32 v179, 0x3f7e222b, v136
	v_dual_add_f32 v119, v199, v187 :: v_dual_add_f32 v32, v32, v34
	v_add_f32_e32 v142, v202, v190
	v_dual_add_f32 v144, v154, v144 :: v_dual_add_f32 v147, v205, v193
	v_dual_add_f32 v44, v124, v44 :: v_dual_add_f32 v33, v33, v49
	s_delay_alu instid0(VALU_DEP_4) | instskip(SKIP_1) | instid1(VALU_DEP_3)
	v_dual_add_f32 v119, v209, v119 :: v_dual_add_f32 v32, v32, v40
	v_fma_f32 v176, 0xbf3f9e67, v134, -v176
	v_dual_add_f32 v45, v125, v45 :: v_dual_add_f32 v44, v128, v44
	v_add_f32_e32 v54, v206, v54
	v_add_f32_e32 v56, v158, v56
	v_dual_add_f32 v102, v159, v102 :: v_dual_fmamk_f32 v133, v136, 0x3f29c268, v177
	v_fmac_f32_e32 v177, 0xbf29c268, v136
	v_dual_add_f32 v121, v161, v122 :: v_dual_add_f32 v40, v132, v44
	v_add_f32_e32 v122, v210, v138
	v_add_f32_e32 v124, v162, v140
	;; [unrolled: 1-line block ×4, first 2 shown]
	v_dual_add_f32 v46, v166, v46 :: v_dual_add_f32 v123, v211, v139
	v_dual_add_f32 v139, v213, v143 :: v_dual_add_f32 v32, v32, v42
	v_add_f32_e32 v33, v33, v35
	v_fma_f32 v178, 0x3df6dbef, v134, -v178
	v_dual_fmamk_f32 v229, v136, 0x3f52af12, v181 :: v_dual_add_f32 v126, v222, v138
	v_fma_f32 v180, 0x3f116cb1, v134, -v180
	v_dual_fmac_f32 v181, 0xbf52af12, v136 :: v_dual_add_f32 v54, v216, v54
	v_dual_fmamk_f32 v231, v136, 0xbe750f2a, v183 :: v_dual_add_f32 v128, v174, v140
	v_fma_f32 v182, 0xbf788fa5, v134, -v182
	v_dual_fmac_f32 v183, 0x3e750f2a, v136 :: v_dual_add_f32 v122, v220, v122
	v_fma_f32 v184, 0x3f62ad3f, v134, -v184
	v_dual_add_f32 v47, v157, v47 :: v_dual_add_f32 v56, v168, v56
	v_dual_add_f32 v55, v207, v55 :: v_dual_add_f32 v124, v172, v124
	v_add_f32_e32 v103, v208, v103
	v_dual_add_f32 v125, v163, v141 :: v_dual_add_f32 v44, v176, v46
	v_dual_add_f32 v32, v32, v36 :: v_dual_add_f32 v33, v33, v41
	;; [unrolled: 1-line block ×5, first 2 shown]
	s_delay_alu instid0(VALU_DEP_4)
	v_dual_add_f32 v47, v167, v47 :: v_dual_add_f32 v32, v32, v38
	v_dual_add_f32 v55, v217, v55 :: v_dual_add_f32 v124, v232, v126
	v_add_f32_e32 v46, v226, v54
	v_dual_add_f32 v103, v218, v103 :: v_dual_add_f32 v126, v184, v128
	v_dual_add_f32 v54, v178, v56 :: v_dual_add_f32 v125, v173, v125
	v_dual_add_f32 v128, v34, v48 :: v_dual_add_f32 v33, v33, v43
	s_delay_alu instid0(VALU_DEP_3)
	v_dual_add_f32 v141, v165, v145 :: v_dual_add_f32 v56, v228, v103
	v_dual_add_f32 v142, v214, v146 :: v_dual_add_f32 v119, v219, v119
	v_dual_add_f32 v32, v32, v50 :: v_dual_add_f32 v121, v171, v121
	v_sub_f32_e32 v50, v49, v35
	v_add_f32_e32 v33, v33, v37
	v_add_f32_e32 v49, v35, v49
	v_dual_add_f32 v123, v221, v123 :: v_dual_fmamk_f32 v36, v136, 0x3f6f5d39, v135
	s_delay_alu instid0(VALU_DEP_3)
	v_dual_add_f32 v52, v130, v52 :: v_dual_add_f32 v33, v33, v39
	v_mul_f32_e32 v37, 0xbe750f2a, v50
	v_add_f32_e32 v127, v223, v139
	v_dual_add_f32 v139, v225, v143 :: v_dual_mul_f32 v38, 0xbf788fa5, v49
	v_add_f32_e32 v129, v175, v141
	v_fma_f32 v35, 0xbeb58ec6, v134, -v137
	v_mul_f32_e32 v39, 0x3eedf032, v50
	v_add_f32_e32 v102, v169, v102
	v_add_f32_e32 v33, v33, v51
	v_dual_add_f32 v130, v36, v139 :: v_dual_add_f32 v51, v185, v129
	v_sub_f32_e32 v129, v48, v34
	v_dual_fmamk_f32 v34, v128, 0xbf788fa5, v37 :: v_dual_add_f32 v53, v131, v53
	v_add_f32_e32 v131, v35, v52
	v_fma_f32 v36, 0xbf788fa5, v128, -v37
	v_fmamk_f32 v37, v128, 0x3f62ad3f, v39
	v_add_f32_e32 v43, v181, v121
	v_fmac_f32_e32 v135, 0xbf6f5d39, v136
	v_add_f32_e32 v34, v34, v40
	v_dual_mul_f32 v40, 0x3f62ad3f, v49 :: v_dual_add_f32 v121, v231, v123
	v_add_f32_e32 v123, v183, v125
	v_fma_f32 v39, 0x3f62ad3f, v128, -v39
	v_add_f32_e32 v41, v133, v45
	v_add_f32_e32 v45, v177, v47
	;; [unrolled: 1-line block ×3, first 2 shown]
	v_dual_add_f32 v55, v179, v102 :: v_dual_add_f32 v102, v36, v44
	v_add_f32_e32 v36, v37, v46
	v_mul_f32_e32 v46, 0x3f52af12, v50
	v_fmamk_f32 v35, v129, 0x3e750f2a, v38
	v_fmac_f32_e32 v38, 0xbe750f2a, v129
	v_dual_add_f32 v138, v224, v142 :: v_dual_add_f32 v119, v229, v119
	s_delay_alu instid0(VALU_DEP_4) | instskip(SKIP_1) | instid1(VALU_DEP_1)
	v_fmamk_f32 v48, v128, 0x3f116cb1, v46
	v_fma_f32 v46, 0x3f116cb1, v128, -v46
	v_dual_add_f32 v125, v233, v127 :: v_dual_add_f32 v46, v46, v122
	v_add_f32_e32 v132, v135, v53
	v_dual_add_f32 v103, v38, v45 :: v_dual_fmamk_f32 v38, v129, 0xbeedf032, v40
	v_fmac_f32_e32 v40, 0x3eedf032, v129
	v_mul_f32_e32 v45, 0xbf3f9e67, v49
	v_add_f32_e32 v127, v234, v138
	s_delay_alu instid0(VALU_DEP_4) | instskip(SKIP_3) | instid1(VALU_DEP_2)
	v_dual_add_f32 v37, v38, v47 :: v_dual_add_f32 v38, v39, v54
	v_add_f32_e32 v35, v35, v41
	v_mul_f32_e32 v41, 0xbf29c268, v50
	v_add_f32_e32 v39, v40, v55
	v_fmamk_f32 v44, v128, 0xbf3f9e67, v41
	v_fma_f32 v47, 0xbf3f9e67, v128, -v41
	s_delay_alu instid0(VALU_DEP_2) | instskip(SKIP_1) | instid1(VALU_DEP_1)
	v_add_f32_e32 v40, v44, v56
	v_fmamk_f32 v44, v129, 0x3f29c268, v45
	v_dual_add_f32 v42, v47, v42 :: v_dual_add_f32 v41, v44, v119
	v_add_f32_e32 v44, v48, v120
	v_mul_f32_e32 v48, 0xbf6f5d39, v50
	v_mul_f32_e32 v52, 0x3f116cb1, v49
	;; [unrolled: 1-line block ×3, first 2 shown]
	v_fmac_f32_e32 v45, 0xbf29c268, v129
	s_delay_alu instid0(VALU_DEP_4) | instskip(SKIP_1) | instid1(VALU_DEP_2)
	v_dual_mul_f32 v53, 0xbeb58ec6, v49 :: v_dual_fmamk_f32 v54, v128, 0xbeb58ec6, v48
	v_fma_f32 v55, 0xbeb58ec6, v128, -v48
	v_add_f32_e32 v48, v54, v124
	s_delay_alu instid0(VALU_DEP_4) | instskip(SKIP_4) | instid1(VALU_DEP_4)
	v_dual_mul_f32 v54, 0x3f7e222b, v50 :: v_dual_add_f32 v43, v45, v43
	v_fmamk_f32 v45, v129, 0xbf52af12, v52
	v_fmac_f32_e32 v52, 0x3f52af12, v129
	v_dual_add_f32 v50, v55, v126 :: v_dual_fmamk_f32 v55, v129, 0xbf7e222b, v56
	v_fmac_f32_e32 v56, 0x3f7e222b, v129
	v_add_f32_e32 v45, v45, v121
	s_delay_alu instid0(VALU_DEP_4) | instskip(SKIP_1) | instid1(VALU_DEP_2)
	v_dual_add_f32 v47, v52, v123 :: v_dual_fmamk_f32 v52, v129, 0x3f6f5d39, v53
	v_fmac_f32_e32 v53, 0xbf6f5d39, v129
	v_add_f32_e32 v49, v52, v125
	v_fmamk_f32 v52, v128, 0x3df6dbef, v54
	v_fma_f32 v54, 0x3df6dbef, v128, -v54
	s_delay_alu instid0(VALU_DEP_4)
	v_add_f32_e32 v51, v53, v51
	v_add_f32_e32 v53, v55, v130
	;; [unrolled: 1-line block ×5, first 2 shown]
	ds_store_2addr_b64 v110, v[32:33], v[34:35] offset1:1
	ds_store_2addr_b64 v110, v[36:37], v[40:41] offset0:2 offset1:3
	ds_store_2addr_b64 v110, v[44:45], v[48:49] offset0:4 offset1:5
	;; [unrolled: 1-line block ×5, first 2 shown]
	ds_store_b64 v110, v[102:103] offset:96
	v_add_nc_u32_e32 v32, 0x400, v107
	global_wb scope:SCOPE_SE
	s_wait_dscnt 0x0
	s_barrier_signal -1
	s_barrier_wait -1
	global_inv scope:SCOPE_SE
	ds_load_2addr_b64 v[46:49], v107 offset0:160 offset1:208
	ds_load_2addr_b64 v[40:43], v107 offset0:32 offset1:64
	ds_load_2addr_b64 v[36:39], v32 offset0:112 offset1:144
	ds_load_2addr_b64 v[53:56], v107 offset0:96 offset1:128
	ds_load_2addr_b64 v[32:35], v109 offset0:48 offset1:80
	ds_load_b64 v[44:45], v108
	ds_load_b64 v[50:51], v107 offset:2944
	s_and_saveexec_b32 s1, vcc_lo
	s_cbranch_execz .LBB0_11
; %bb.10:
	ds_load_b64 v[102:103], v104 offset:1536
	ds_load_b64 v[28:29], v107 offset:3200
.LBB0_11:
	s_wait_alu 0xfffe
	s_or_b32 exec_lo, exec_lo, s1
	s_wait_dscnt 0x6
	v_mul_f32_e32 v52, v97, v49
	s_wait_dscnt 0x4
	v_mul_f32_e32 v109, v95, v37
	v_mul_f32_e32 v95, v95, v36
	global_wb scope:SCOPE_SE
	s_wait_dscnt 0x0
	s_barrier_signal -1
	v_fmac_f32_e32 v52, v96, v48
	v_dual_fmac_f32 v109, v94, v36 :: v_dual_mul_f32 v36, v93, v38
	v_mul_f32_e32 v97, v97, v48
	v_fma_f32 v37, v94, v37, -v95
	s_barrier_wait -1
	global_inv scope:SCOPE_SE
	v_fma_f32 v48, v96, v49, -v97
	v_mul_f32_e32 v49, v93, v39
	v_mul_f32_e32 v93, v91, v33
	v_sub_f32_e32 v37, v41, v37
	s_delay_alu instid0(VALU_DEP_3) | instskip(SKIP_3) | instid1(VALU_DEP_2)
	v_fmac_f32_e32 v49, v92, v38
	v_fma_f32 v38, v92, v39, -v36
	v_mul_f32_e32 v39, v89, v35
	v_dual_mul_f32 v91, v91, v32 :: v_dual_sub_f32 v36, v40, v109
	v_fmac_f32_e32 v39, v88, v34
	v_dual_fmac_f32 v93, v90, v32 :: v_dual_mul_f32 v32, v89, v34
	s_delay_alu instid0(VALU_DEP_3) | instskip(SKIP_1) | instid1(VALU_DEP_3)
	v_fma_f32 v90, v90, v33, -v91
	v_dual_mul_f32 v33, v87, v50 :: v_dual_mul_f32 v34, v85, v28
	v_fma_f32 v88, v88, v35, -v32
	v_sub_f32_e32 v32, v44, v52
	v_sub_f32_e32 v52, v55, v39
	v_mul_f32_e32 v89, v87, v51
	v_mul_f32_e32 v87, v85, v29
	v_fma_f32 v29, v84, v29, -v34
	v_fma_f32 v34, v40, 2.0, -v36
	s_delay_alu instid0(VALU_DEP_4) | instskip(NEXT) | instid1(VALU_DEP_4)
	v_dual_sub_f32 v40, v53, v93 :: v_dual_fmac_f32 v89, v86, v50
	v_fmac_f32_e32 v87, v84, v28
	v_fma_f32 v84, v44, 2.0, -v32
	v_fma_f32 v35, v41, 2.0, -v37
	v_sub_f32_e32 v41, v54, v90
	v_fma_f32 v50, v53, 2.0, -v40
	v_sub_f32_e32 v28, v102, v87
	v_fma_f32 v86, v86, v51, -v33
	v_dual_sub_f32 v33, v45, v48 :: v_dual_sub_f32 v48, v42, v49
	v_sub_f32_e32 v49, v43, v38
	v_dual_sub_f32 v53, v56, v88 :: v_dual_sub_f32 v44, v46, v89
	s_delay_alu instid0(VALU_DEP_3)
	v_fma_f32 v85, v45, 2.0, -v33
	v_sub_f32_e32 v45, v47, v86
	v_sub_f32_e32 v29, v103, v29
	v_fma_f32 v38, v42, 2.0, -v48
	v_fma_f32 v39, v43, 2.0, -v49
	;; [unrolled: 1-line block ×9, first 2 shown]
	ds_store_2addr_b64 v116, v[84:85], v[32:33] offset1:13
	ds_store_2addr_b64 v118, v[34:35], v[36:37] offset1:13
	;; [unrolled: 1-line block ×6, first 2 shown]
	s_and_saveexec_b32 s1, vcc_lo
	s_cbranch_execz .LBB0_13
; %bb.12:
	v_mul_u32_u24_e32 v56, 26, v112
	s_delay_alu instid0(VALU_DEP_1) | instskip(NEXT) | instid1(VALU_DEP_1)
	v_add_nc_u32_e32 v56, v56, v111
	v_lshl_add_u32 v56, v56, 3, v105
	ds_store_2addr_b64 v56, v[46:47], v[28:29] offset1:13
.LBB0_13:
	s_wait_alu 0xfffe
	s_or_b32 exec_lo, exec_lo, s1
	global_wb scope:SCOPE_SE
	s_wait_dscnt 0x0
	s_barrier_signal -1
	s_barrier_wait -1
	global_inv scope:SCOPE_SE
	s_and_saveexec_b32 s1, s0
	s_cbranch_execz .LBB0_15
; %bb.14:
	v_add_nc_u32_e32 v28, 0x400, v107
	v_add_nc_u32_e32 v29, 0x800, v107
	ds_load_2addr_b64 v[32:35], v107 offset0:26 offset1:52
	ds_load_2addr_b64 v[36:39], v107 offset0:78 offset1:104
	ds_load_2addr_b64 v[48:51], v107 offset0:130 offset1:156
	ds_load_2addr_b64 v[40:43], v107 offset0:182 offset1:208
	ds_load_2addr_b64 v[52:55], v28 offset0:106 offset1:132
	ds_load_2addr_b64 v[44:47], v29 offset0:30 offset1:56
	ds_load_2addr_b64 v[28:31], v29 offset0:82 offset1:108
	ds_load_b64 v[84:85], v108
	ds_load_b64 v[100:101], v107 offset:3120
.LBB0_15:
	s_wait_alu 0xfffe
	s_or_b32 exec_lo, exec_lo, s1
	s_and_saveexec_b32 s1, s0
	s_cbranch_execz .LBB0_17
; %bb.16:
	s_wait_dscnt 0x2
	v_mul_f32_e32 v88, v27, v31
	v_mul_f32_e32 v87, v15, v51
	v_mul_f32_e32 v91, v19, v47
	v_mul_f32_e32 v90, v7, v39
	v_mul_f32_e32 v27, v27, v30
	v_fmac_f32_e32 v88, v26, v30
	v_fmac_f32_e32 v87, v14, v50
	;; [unrolled: 1-line block ×4, first 2 shown]
	v_mul_f32_e32 v86, v23, v54
	v_mul_f32_e32 v23, v23, v55
	v_sub_f32_e32 v88, v87, v88
	v_mul_f32_e32 v89, v3, v42
	v_sub_f32_e32 v91, v90, v91
	v_fma_f32 v86, v22, v55, -v86
	v_dual_fmac_f32 v23, v22, v54 :: v_dual_mul_f32 v22, v17, v44
	s_delay_alu instid0(VALU_DEP_4) | instskip(SKIP_2) | instid1(VALU_DEP_4)
	v_fma_f32 v89, v2, v43, -v89
	v_mul_f32_e32 v56, v11, v34
	v_mul_f32_e32 v11, v11, v35
	v_fma_f32 v22, v16, v45, -v22
	s_wait_dscnt 0x1
	v_sub_f32_e32 v89, v85, v89
	v_fma_f32 v56, v10, v35, -v56
	v_dual_fmac_f32 v11, v10, v34 :: v_dual_mul_f32 v10, v5, v36
	v_mul_f32_e32 v5, v5, v37
	s_delay_alu instid0(VALU_DEP_3) | instskip(SKIP_1) | instid1(VALU_DEP_4)
	v_dual_sub_f32 v93, v89, v91 :: v_dual_sub_f32 v86, v56, v86
	v_mul_f32_e32 v34, v21, v52
	v_fma_f32 v10, v4, v37, -v10
	s_delay_alu instid0(VALU_DEP_3) | instskip(SKIP_1) | instid1(VALU_DEP_3)
	v_dual_sub_f32 v92, v86, v88 :: v_dual_mul_f32 v15, v15, v50
	v_mul_f32_e32 v50, v25, v29
	v_dual_sub_f32 v22, v10, v22 :: v_dual_mul_f32 v21, v21, v53
	s_delay_alu instid0(VALU_DEP_3) | instskip(NEXT) | instid1(VALU_DEP_4)
	v_fmamk_f32 v30, v92, 0x3f3504f3, v93
	v_fma_f32 v14, v14, v51, -v15
	v_fma_f32 v15, v26, v31, -v27
	v_mul_f32_e32 v26, v1, v41
	v_mul_f32_e32 v31, v9, v32
	s_wait_dscnt 0x0
	v_dual_mul_f32 v27, v99, v101 :: v_dual_fmac_f32 v50, v24, v28
	s_delay_alu instid0(VALU_DEP_3)
	v_dual_sub_f32 v15, v14, v15 :: v_dual_fmac_f32 v26, v0, v40
	v_sub_f32_e32 v23, v11, v23
	v_fma_f32 v31, v8, v33, -v31
	v_fma_f32 v34, v20, v53, -v34
	v_mul_f32_e32 v35, v13, v49
	v_fma_f32 v10, v10, 2.0, -v22
	v_add_f32_e32 v51, v15, v23
	v_fma_f32 v11, v11, 2.0, -v23
	s_delay_alu instid0(VALU_DEP_4) | instskip(NEXT) | instid1(VALU_DEP_1)
	v_dual_sub_f32 v34, v31, v34 :: v_dual_fmac_f32 v35, v12, v48
	v_dual_fmac_f32 v27, v98, v100 :: v_dual_sub_f32 v50, v35, v50
	s_delay_alu instid0(VALU_DEP_1) | instskip(NEXT) | instid1(VALU_DEP_2)
	v_sub_f32_e32 v27, v26, v27
	v_dual_sub_f32 v54, v34, v50 :: v_dual_fmac_f32 v5, v4, v36
	v_mul_f32_e32 v4, v17, v45
	v_dual_mul_f32 v1, v1, v40 :: v_dual_fmac_f32 v30, 0xbf3504f3, v51
	v_dual_mul_f32 v40, v99, v100 :: v_dual_mul_f32 v9, v9, v33
	s_delay_alu instid0(VALU_DEP_3) | instskip(NEXT) | instid1(VALU_DEP_3)
	v_fmac_f32_e32 v4, v16, v44
	v_fma_f32 v0, v0, v41, -v1
	s_delay_alu instid0(VALU_DEP_3) | instskip(SKIP_3) | instid1(VALU_DEP_4)
	v_fma_f32 v1, v98, v101, -v40
	v_sub_f32_e32 v37, v22, v27
	v_fmac_f32_e32 v9, v8, v32
	v_fma_f32 v40, v89, 2.0, -v93
	v_sub_f32_e32 v8, v0, v1
	s_delay_alu instid0(VALU_DEP_4) | instskip(SKIP_2) | instid1(VALU_DEP_4)
	v_fmamk_f32 v16, v37, 0x3f3504f3, v54
	v_dual_sub_f32 v4, v5, v4 :: v_dual_mul_f32 v1, v7, v38
	v_mul_f32_e32 v7, v19, v46
	v_fma_f32 v0, v0, 2.0, -v8
	v_fma_f32 v22, v22, 2.0, -v37
	s_delay_alu instid0(VALU_DEP_4)
	v_add_f32_e32 v19, v8, v4
	v_mul_f32_e32 v13, v13, v48
	v_mul_f32_e32 v17, v25, v28
	v_fma_f32 v25, v31, 2.0, -v34
	v_mul_f32_e32 v3, v3, v43
	v_fma_f32 v6, v6, v39, -v1
	v_fma_f32 v1, v18, v47, -v7
	v_fmac_f32_e32 v16, 0xbf3504f3, v19
	v_fma_f32 v12, v12, v49, -v13
	v_fma_f32 v13, v24, v29, -v17
	v_sub_f32_e32 v33, v10, v0
	v_fmac_f32_e32 v3, v2, v42
	v_dual_fmac_f32 v21, v20, v52 :: v_dual_sub_f32 v2, v6, v1
	s_delay_alu instid0(VALU_DEP_4) | instskip(SKIP_1) | instid1(VALU_DEP_4)
	v_sub_f32_e32 v13, v12, v13
	v_fma_f32 v24, v85, 2.0, -v89
	v_sub_f32_e32 v7, v84, v3
	s_delay_alu instid0(VALU_DEP_4)
	v_sub_f32_e32 v17, v9, v21
	v_fma_f32 v8, v90, 2.0, -v91
	v_fma_f32 v3, v87, 2.0, -v88
	;; [unrolled: 1-line block ×3, first 2 shown]
	v_add_f32_e32 v21, v2, v7
	v_fma_f32 v2, v6, 2.0, -v2
	v_fma_f32 v6, v12, 2.0, -v13
	;; [unrolled: 1-line block ×4, first 2 shown]
	v_fmamk_f32 v26, v51, 0x3f3504f3, v21
	s_delay_alu instid0(VALU_DEP_4) | instskip(NEXT) | instid1(VALU_DEP_3)
	v_sub_f32_e32 v28, v25, v6
	v_sub_f32_e32 v6, v12, v5
	s_delay_alu instid0(VALU_DEP_3) | instskip(NEXT) | instid1(VALU_DEP_3)
	v_fmac_f32_e32 v26, 0x3f3504f3, v92
	v_fma_f32 v25, v25, 2.0, -v28
	s_delay_alu instid0(VALU_DEP_3)
	v_sub_f32_e32 v32, v28, v6
	v_add_f32_e32 v20, v13, v17
	v_fma_f32 v29, v9, 2.0, -v17
	v_fma_f32 v9, v23, 2.0, -v51
	v_sub_f32_e32 v27, v24, v2
	v_fma_f32 v2, v35, 2.0, -v50
	v_fmamk_f32 v18, v19, 0x3f3504f3, v20
	v_fma_f32 v23, v34, 2.0, -v54
	v_fma_f32 v34, v17, 2.0, -v20
	;; [unrolled: 1-line block ×3, first 2 shown]
	s_delay_alu instid0(VALU_DEP_4) | instskip(SKIP_2) | instid1(VALU_DEP_3)
	v_dual_sub_f32 v35, v29, v2 :: v_dual_fmac_f32 v18, 0x3f3504f3, v37
	v_fma_f32 v2, v14, 2.0, -v15
	v_fmamk_f32 v43, v22, 0xbf3504f3, v23
	v_fmamk_f32 v0, v18, 0x3f6c835e, v26
	v_fma_f32 v4, v4, 2.0, -v19
	v_sub_f32_e32 v13, v11, v3
	v_fma_f32 v20, v20, 2.0, -v18
	s_delay_alu instid0(VALU_DEP_4) | instskip(NEXT) | instid1(VALU_DEP_4)
	v_fmac_f32_e32 v0, 0x3ec3ef15, v16
	v_fmamk_f32 v44, v4, 0xbf3504f3, v34
	v_fma_f32 v14, v84, 2.0, -v7
	v_fmac_f32_e32 v43, 0xbf3504f3, v4
	s_delay_alu instid0(VALU_DEP_4) | instskip(NEXT) | instid1(VALU_DEP_3)
	v_fma_f32 v4, v26, 2.0, -v0
	v_dual_fmac_f32 v44, 0x3f3504f3, v22 :: v_dual_sub_f32 v39, v14, v8
	v_fma_f32 v8, v86, 2.0, -v92
	v_add_f32_e32 v36, v33, v35
	s_delay_alu instid0(VALU_DEP_2) | instskip(SKIP_1) | instid1(VALU_DEP_1)
	v_fmamk_f32 v42, v8, 0xbf3504f3, v40
	v_fma_f32 v37, v7, 2.0, -v21
	v_dual_fmac_f32 v42, 0xbf3504f3, v9 :: v_dual_fmamk_f32 v45, v9, 0xbf3504f3, v37
	v_fma_f32 v22, v24, 2.0, -v27
	s_delay_alu instid0(VALU_DEP_2) | instskip(NEXT) | instid1(VALU_DEP_1)
	v_fmac_f32_e32 v45, 0x3f3504f3, v8
	v_dual_sub_f32 v15, v38, v2 :: v_dual_fmamk_f32 v8, v44, 0x3ec3ef15, v45
	s_delay_alu instid0(VALU_DEP_1) | instskip(NEXT) | instid1(VALU_DEP_2)
	v_fmac_f32_e32 v8, 0x3f6c835e, v43
	v_add_f32_e32 v41, v15, v39
	v_sub_f32_e32 v31, v27, v13
	v_fma_f32 v15, v38, 2.0, -v15
	v_fma_f32 v46, v14, 2.0, -v39
	;; [unrolled: 1-line block ×3, first 2 shown]
	v_fmamk_f32 v2, v36, 0x3f3504f3, v41
	v_fma_f32 v10, v45, 2.0, -v8
	s_delay_alu instid0(VALU_DEP_2)
	v_dual_sub_f32 v47, v25, v14 :: v_dual_fmac_f32 v2, 0x3f3504f3, v32
	v_fma_f32 v24, v29, 2.0, -v35
	v_fma_f32 v14, v27, 2.0, -v31
	;; [unrolled: 1-line block ×3, first 2 shown]
	v_fmamk_f32 v3, v32, 0x3f3504f3, v31
	v_fma_f32 v32, v21, 2.0, -v26
	v_sub_f32_e32 v38, v24, v12
	v_fma_f32 v12, v11, 2.0, -v13
	v_fma_f32 v26, v35, 2.0, -v36
	;; [unrolled: 1-line block ×5, first 2 shown]
	v_sub_f32_e32 v33, v46, v12
	v_fmamk_f32 v1, v16, 0x3f6c835e, v30
	v_fma_f32 v16, v54, 2.0, -v16
	v_fma_f32 v6, v41, 2.0, -v2
	s_delay_alu instid0(VALU_DEP_3) | instskip(SKIP_2) | instid1(VALU_DEP_3)
	v_dual_add_f32 v12, v33, v47 :: v_dual_fmac_f32 v1, 0xbec3ef15, v18
	v_dual_fmamk_f32 v18, v20, 0xbec3ef15, v32 :: v_dual_sub_f32 v29, v22, v15
	v_fmamk_f32 v15, v27, 0xbf3504f3, v14
	v_fma_f32 v5, v30, 2.0, -v1
	s_delay_alu instid0(VALU_DEP_3) | instskip(SKIP_1) | instid1(VALU_DEP_4)
	v_fmac_f32_e32 v18, 0x3f6c835e, v16
	v_fma_f32 v30, v93, 2.0, -v30
	v_fmac_f32_e32 v15, 0xbf3504f3, v26
	v_sub_f32_e32 v13, v29, v38
	s_delay_alu instid0(VALU_DEP_3) | instskip(NEXT) | instid1(VALU_DEP_3)
	v_fmamk_f32 v19, v16, 0xbec3ef15, v30
	v_fma_f32 v21, v14, 2.0, -v15
	v_fmamk_f32 v14, v26, 0xbf3504f3, v28
	v_fma_f32 v16, v34, 2.0, -v44
	v_fma_f32 v26, v37, 2.0, -v45
	;; [unrolled: 1-line block ×3, first 2 shown]
	v_fmamk_f32 v9, v43, 0x3ec3ef15, v42
	v_fmac_f32_e32 v14, 0x3f3504f3, v27
	v_fmac_f32_e32 v3, 0xbf3504f3, v36
	v_fma_f32 v17, v29, 2.0, -v13
	v_sub_f32_e32 v24, v34, v24
	v_fmac_f32_e32 v19, 0xbf6c835e, v20
	v_fma_f32 v29, v22, 2.0, -v29
	v_fma_f32 v7, v31, 2.0, -v3
	;; [unrolled: 1-line block ×4, first 2 shown]
	v_dual_fmac_f32 v9, 0xbf6c835e, v44 :: v_dual_fmamk_f32 v22, v16, 0xbf6c835e, v26
	s_delay_alu instid0(VALU_DEP_3) | instskip(NEXT) | instid1(VALU_DEP_3)
	v_fmamk_f32 v23, v35, 0xbf6c835e, v31
	v_sub_f32_e32 v25, v29, v20
	v_fma_f32 v20, v28, 2.0, -v14
	s_delay_alu instid0(VALU_DEP_4)
	v_fmac_f32_e32 v22, 0x3ec3ef15, v35
	v_fma_f32 v28, v34, 2.0, -v24
	v_fmac_f32_e32 v23, 0xbec3ef15, v16
	v_fma_f32 v29, v29, 2.0, -v25
	v_fma_f32 v11, v42, 2.0, -v9
	;; [unrolled: 1-line block ×3, first 2 shown]
	s_delay_alu instid0(VALU_DEP_4)
	v_fma_f32 v27, v31, 2.0, -v23
	v_fma_f32 v31, v30, 2.0, -v19
	;; [unrolled: 1-line block ×3, first 2 shown]
	ds_store_b64 v108, v[28:29]
	ds_store_2addr_b64 v107, v[26:27], v[20:21] offset0:26 offset1:52
	v_add_nc_u32_e32 v20, 0x400, v107
	v_fma_f32 v16, v33, 2.0, -v12
	v_add_nc_u32_e32 v21, 0x800, v107
	ds_store_2addr_b64 v107, v[30:31], v[16:17] offset0:78 offset1:104
	ds_store_2addr_b64 v107, v[10:11], v[6:7] offset0:130 offset1:156
	;; [unrolled: 1-line block ×6, first 2 shown]
	ds_store_b64 v107, v[0:1] offset:3120
.LBB0_17:
	s_wait_alu 0xfffe
	s_or_b32 exec_lo, exec_lo, s1
	global_wb scope:SCOPE_SE
	s_wait_dscnt 0x0
	s_barrier_signal -1
	s_barrier_wait -1
	global_inv scope:SCOPE_SE
	ds_load_b64 v[16:17], v108
	ds_load_2addr_b64 v[0:3], v107 offset0:32 offset1:64
	ds_load_2addr_b64 v[4:7], v107 offset0:96 offset1:128
	;; [unrolled: 1-line block ×3, first 2 shown]
	v_mad_co_u64_u32 v[20:21], null, s6, v57, 0
	v_mad_co_u64_u32 v[22:23], null, s4, v106, 0
	v_add_nc_u32_e32 v18, 0x800, v107
	ds_load_b64 v[24:25], v104 offset:1536
	ds_load_b64 v[26:27], v107 offset:3072
	s_mov_b32 s0, 0x13b13b14
	s_mov_b32 s1, 0x3f63b13b
	s_wait_dscnt 0x5
	v_mul_f32_e32 v19, v61, v17
	s_wait_dscnt 0x3
	v_dual_mul_f32 v29, v65, v0 :: v_dual_mul_f32 v38, v63, v5
	v_mul_f32_e32 v32, v65, v1
	v_mul_f32_e32 v28, v61, v16
	v_fmac_f32_e32 v19, v60, v16
	s_delay_alu instid0(VALU_DEP_4)
	v_fma_f32 v1, v64, v1, -v29
	s_wait_dscnt 0x2
	v_dual_mul_f32 v39, v63, v4 :: v_dual_mul_f32 v42, v69, v9
	v_fmac_f32_e32 v32, v64, v0
	v_mov_b32_e32 v0, v21
	v_cvt_f64_f32_e32 v[34:35], v1
	v_mov_b32_e32 v1, v23
	v_fma_f32 v16, v60, v17, -v28
	v_cvt_f64_f32_e32 v[28:29], v19
	v_dual_mul_f32 v40, v67, v7 :: v_dual_mul_f32 v43, v69, v8
	s_delay_alu instid0(VALU_DEP_4) | instskip(NEXT) | instid1(VALU_DEP_4)
	v_mad_co_u64_u32 v[36:37], null, s7, v57, v[0:1]
	v_cvt_f64_f32_e32 v[30:31], v16
	v_mul_f32_e32 v37, v59, v3
	v_cvt_f64_f32_e32 v[32:33], v32
	v_mad_co_u64_u32 v[0:1], null, s5, v106, v[1:2]
	v_mul_f32_e32 v1, v59, v2
	s_wait_dscnt 0x1
	v_dual_mul_f32 v41, v67, v6 :: v_dual_mul_f32 v44, v73, v25
	ds_load_2addr_b64 v[12:15], v18 offset1:32
	v_dual_mul_f32 v47, v77, v10 :: v_dual_fmac_f32 v38, v62, v4
	v_dual_mov_b32 v21, v36 :: v_dual_fmac_f32 v40, v66, v6
	v_mov_b32_e32 v23, v0
	v_dual_fmac_f32 v37, v58, v2 :: v_dual_fmac_f32 v42, v68, v8
	v_fma_f32 v36, v58, v3, -v1
	v_fma_f32 v39, v62, v5, -v39
	;; [unrolled: 1-line block ×3, first 2 shown]
	s_wait_dscnt 0x1
	v_dual_mul_f32 v46, v77, v11 :: v_dual_mul_f32 v49, v83, v26
	ds_load_2addr_b64 v[16:19], v18 offset0:64 offset1:96
	v_fma_f32 v43, v68, v9, -v43
	v_fma_f32 v47, v76, v11, -v47
	v_fmac_f32_e32 v46, v76, v10
	v_cvt_f64_f32_e32 v[8:9], v37
	v_cvt_f64_f32_e32 v[10:11], v36
	v_dual_mul_f32 v45, v73, v24 :: v_dual_mul_f32 v48, v83, v27
	s_wait_dscnt 0x1
	v_dual_fmac_f32 v44, v72, v24 :: v_dual_mul_f32 v53, v75, v14
	s_wait_alu 0xfffe
	v_mul_f64_e32 v[6:7], s[0:1], v[34:35]
	v_fma_f32 v45, v72, v25, -v45
	v_mul_f64_e32 v[0:1], s[0:1], v[28:29]
	v_mul_f32_e32 v50, v71, v13
	v_mul_f32_e32 v51, v71, v12
	v_cvt_f64_f32_e32 v[24:25], v38
	v_cvt_f64_f32_e32 v[28:29], v39
	v_mul_f64_e32 v[2:3], s[0:1], v[30:31]
	v_mul_f32_e32 v52, v75, v15
	v_mul_f64_e32 v[4:5], s[0:1], v[32:33]
	s_wait_dscnt 0x0
	v_dual_mul_f32 v57, v81, v18 :: v_dual_mul_f32 v54, v79, v17
	v_dual_mul_f32 v55, v79, v16 :: v_dual_mul_f32 v56, v81, v19
	v_fmac_f32_e32 v48, v82, v26
	v_fma_f32 v58, v82, v27, -v49
	v_cvt_f64_f32_e32 v[26:27], v40
	v_cvt_f64_f32_e32 v[30:31], v41
	;; [unrolled: 1-line block ×6, first 2 shown]
	v_fmac_f32_e32 v50, v70, v12
	v_fma_f32 v44, v70, v13, -v51
	v_fmac_f32_e32 v52, v74, v14
	v_fma_f32 v45, v74, v15, -v53
	v_cvt_f64_f32_e32 v[40:41], v46
	v_cvt_f64_f32_e32 v[42:43], v47
	v_fmac_f32_e32 v54, v78, v16
	v_fma_f32 v46, v78, v17, -v55
	v_fmac_f32_e32 v56, v80, v18
	v_fma_f32 v47, v80, v19, -v57
	v_cvt_f64_f32_e32 v[12:13], v50
	v_cvt_f64_f32_e32 v[14:15], v44
	;; [unrolled: 1-line block ×7, first 2 shown]
	v_mul_f64_e32 v[8:9], s[0:1], v[8:9]
	v_cvt_f32_f64_e32 v0, v[0:1]
	v_mul_f64_e32 v[10:11], s[0:1], v[10:11]
	v_lshlrev_b64_e32 v[20:21], 3, v[20:21]
	v_lshlrev_b64_e32 v[22:23], 3, v[22:23]
	v_mul_f64_e32 v[24:25], s[0:1], v[24:25]
	v_cvt_f32_f64_e32 v1, v[2:3]
	v_cvt_f32_f64_e32 v3, v[6:7]
	;; [unrolled: 1-line block ×3, first 2 shown]
	v_cvt_f64_f32_e32 v[4:5], v45
	v_cvt_f64_f32_e32 v[6:7], v54
	;; [unrolled: 1-line block ×3, first 2 shown]
	v_add_co_u32 v52, vcc_lo, s2, v20
	s_wait_alu 0xfffd
	v_add_co_ci_u32_e32 v53, vcc_lo, s3, v21, vcc_lo
	v_mul_f64_e32 v[28:29], s[0:1], v[28:29]
	s_delay_alu instid0(VALU_DEP_3)
	v_add_co_u32 v22, vcc_lo, v52, v22
	v_mul_f64_e32 v[20:21], s[0:1], v[26:27]
	v_mul_f64_e32 v[26:27], s[0:1], v[30:31]
	s_wait_alu 0xfffd
	v_add_co_ci_u32_e32 v23, vcc_lo, v53, v23, vcc_lo
	v_mul_f64_e32 v[30:31], s[0:1], v[32:33]
	v_mul_f64_e32 v[32:33], s[0:1], v[34:35]
	v_mul_f64_e32 v[34:35], s[0:1], v[36:37]
	v_mul_f64_e32 v[36:37], s[0:1], v[38:39]
	s_lshl_b64 s[4:5], s[4:5], 8
	v_mul_f64_e32 v[40:41], s[0:1], v[40:41]
	s_wait_alu 0xfffe
	v_add_co_u32 v38, vcc_lo, v22, s4
	s_wait_alu 0xfffd
	v_add_co_ci_u32_e32 v39, vcc_lo, s5, v23, vcc_lo
	v_mul_f64_e32 v[42:43], s[0:1], v[42:43]
	v_mul_f64_e32 v[12:13], s[0:1], v[12:13]
	;; [unrolled: 1-line block ×4, first 2 shown]
	s_clause 0x1
	global_store_b64 v[22:23], v[0:1], off
	global_store_b64 v[38:39], v[2:3], off
	v_mul_f64_e32 v[22:23], s[0:1], v[48:49]
	v_mul_f64_e32 v[0:1], s[0:1], v[4:5]
	;; [unrolled: 1-line block ×7, first 2 shown]
	v_cvt_f32_f64_e32 v8, v[8:9]
	v_cvt_f32_f64_e32 v9, v[10:11]
	v_add_co_u32 v10, vcc_lo, v38, s4
	s_wait_alu 0xfffd
	v_add_co_ci_u32_e32 v11, vcc_lo, s5, v39, vcc_lo
	v_cvt_f32_f64_e32 v24, v[24:25]
	v_cvt_f32_f64_e32 v25, v[28:29]
	v_add_co_u32 v28, vcc_lo, v10, s4
	s_wait_alu 0xfffd
	v_add_co_ci_u32_e32 v29, vcc_lo, s5, v11, vcc_lo
	v_cvt_f32_f64_e32 v20, v[20:21]
	v_cvt_f32_f64_e32 v21, v[26:27]
	;; [unrolled: 1-line block ×6, first 2 shown]
	v_add_co_u32 v26, vcc_lo, v28, s4
	s_wait_alu 0xfffd
	v_add_co_ci_u32_e32 v27, vcc_lo, s5, v29, vcc_lo
	v_cvt_f32_f64_e32 v36, v[40:41]
	v_cvt_f32_f64_e32 v37, v[42:43]
	v_add_co_u32 v34, vcc_lo, v26, s4
	v_cvt_f32_f64_e32 v12, v[12:13]
	v_cvt_f32_f64_e32 v13, v[14:15]
	v_cvt_f32_f64_e32 v14, v[16:17]
	s_wait_alu 0xfffd
	v_add_co_ci_u32_e32 v35, vcc_lo, s5, v27, vcc_lo
	v_cvt_f32_f64_e32 v15, v[0:1]
	v_cvt_f32_f64_e32 v0, v[2:3]
	;; [unrolled: 1-line block ×7, first 2 shown]
	v_add_co_u32 v6, vcc_lo, v34, s4
	s_wait_alu 0xfffd
	v_add_co_ci_u32_e32 v7, vcc_lo, s5, v35, vcc_lo
	global_store_b64 v[10:11], v[8:9], off
	v_add_co_u32 v8, vcc_lo, v6, s4
	s_wait_alu 0xfffd
	v_add_co_ci_u32_e32 v9, vcc_lo, s5, v7, vcc_lo
	global_store_b64 v[28:29], v[24:25], off
	;; [unrolled: 4-line block ×7, first 2 shown]
	global_store_b64 v[16:17], v[14:15], off
	global_store_b64 v[18:19], v[0:1], off
	;; [unrolled: 1-line block ×4, first 2 shown]
.LBB0_18:
	s_nop 0
	s_sendmsg sendmsg(MSG_DEALLOC_VGPRS)
	s_endpgm
	.section	.rodata,"a",@progbits
	.p2align	6, 0x0
	.amdhsa_kernel bluestein_single_fwd_len416_dim1_sp_op_CI_CI
		.amdhsa_group_segment_fixed_size 6656
		.amdhsa_private_segment_fixed_size 0
		.amdhsa_kernarg_size 104
		.amdhsa_user_sgpr_count 2
		.amdhsa_user_sgpr_dispatch_ptr 0
		.amdhsa_user_sgpr_queue_ptr 0
		.amdhsa_user_sgpr_kernarg_segment_ptr 1
		.amdhsa_user_sgpr_dispatch_id 0
		.amdhsa_user_sgpr_private_segment_size 0
		.amdhsa_wavefront_size32 1
		.amdhsa_uses_dynamic_stack 0
		.amdhsa_enable_private_segment 0
		.amdhsa_system_sgpr_workgroup_id_x 1
		.amdhsa_system_sgpr_workgroup_id_y 0
		.amdhsa_system_sgpr_workgroup_id_z 0
		.amdhsa_system_sgpr_workgroup_info 0
		.amdhsa_system_vgpr_workitem_id 0
		.amdhsa_next_free_vgpr 235
		.amdhsa_next_free_sgpr 20
		.amdhsa_reserve_vcc 1
		.amdhsa_float_round_mode_32 0
		.amdhsa_float_round_mode_16_64 0
		.amdhsa_float_denorm_mode_32 3
		.amdhsa_float_denorm_mode_16_64 3
		.amdhsa_fp16_overflow 0
		.amdhsa_workgroup_processor_mode 1
		.amdhsa_memory_ordered 1
		.amdhsa_forward_progress 0
		.amdhsa_round_robin_scheduling 0
		.amdhsa_exception_fp_ieee_invalid_op 0
		.amdhsa_exception_fp_denorm_src 0
		.amdhsa_exception_fp_ieee_div_zero 0
		.amdhsa_exception_fp_ieee_overflow 0
		.amdhsa_exception_fp_ieee_underflow 0
		.amdhsa_exception_fp_ieee_inexact 0
		.amdhsa_exception_int_div_zero 0
	.end_amdhsa_kernel
	.text
.Lfunc_end0:
	.size	bluestein_single_fwd_len416_dim1_sp_op_CI_CI, .Lfunc_end0-bluestein_single_fwd_len416_dim1_sp_op_CI_CI
                                        ; -- End function
	.section	.AMDGPU.csdata,"",@progbits
; Kernel info:
; codeLenInByte = 14052
; NumSgprs: 22
; NumVgprs: 235
; ScratchSize: 0
; MemoryBound: 0
; FloatMode: 240
; IeeeMode: 1
; LDSByteSize: 6656 bytes/workgroup (compile time only)
; SGPRBlocks: 2
; VGPRBlocks: 29
; NumSGPRsForWavesPerEU: 22
; NumVGPRsForWavesPerEU: 235
; Occupancy: 6
; WaveLimiterHint : 1
; COMPUTE_PGM_RSRC2:SCRATCH_EN: 0
; COMPUTE_PGM_RSRC2:USER_SGPR: 2
; COMPUTE_PGM_RSRC2:TRAP_HANDLER: 0
; COMPUTE_PGM_RSRC2:TGID_X_EN: 1
; COMPUTE_PGM_RSRC2:TGID_Y_EN: 0
; COMPUTE_PGM_RSRC2:TGID_Z_EN: 0
; COMPUTE_PGM_RSRC2:TIDIG_COMP_CNT: 0
	.text
	.p2alignl 7, 3214868480
	.fill 96, 4, 3214868480
	.type	__hip_cuid_424467e330baed2f,@object ; @__hip_cuid_424467e330baed2f
	.section	.bss,"aw",@nobits
	.globl	__hip_cuid_424467e330baed2f
__hip_cuid_424467e330baed2f:
	.byte	0                               ; 0x0
	.size	__hip_cuid_424467e330baed2f, 1

	.ident	"AMD clang version 19.0.0git (https://github.com/RadeonOpenCompute/llvm-project roc-6.4.0 25133 c7fe45cf4b819c5991fe208aaa96edf142730f1d)"
	.section	".note.GNU-stack","",@progbits
	.addrsig
	.addrsig_sym __hip_cuid_424467e330baed2f
	.amdgpu_metadata
---
amdhsa.kernels:
  - .args:
      - .actual_access:  read_only
        .address_space:  global
        .offset:         0
        .size:           8
        .value_kind:     global_buffer
      - .actual_access:  read_only
        .address_space:  global
        .offset:         8
        .size:           8
        .value_kind:     global_buffer
      - .actual_access:  read_only
        .address_space:  global
        .offset:         16
        .size:           8
        .value_kind:     global_buffer
      - .actual_access:  read_only
        .address_space:  global
        .offset:         24
        .size:           8
        .value_kind:     global_buffer
      - .actual_access:  read_only
        .address_space:  global
        .offset:         32
        .size:           8
        .value_kind:     global_buffer
      - .offset:         40
        .size:           8
        .value_kind:     by_value
      - .address_space:  global
        .offset:         48
        .size:           8
        .value_kind:     global_buffer
      - .address_space:  global
        .offset:         56
        .size:           8
        .value_kind:     global_buffer
      - .address_space:  global
        .offset:         64
        .size:           8
        .value_kind:     global_buffer
      - .address_space:  global
        .offset:         72
        .size:           8
        .value_kind:     global_buffer
      - .offset:         80
        .size:           4
        .value_kind:     by_value
      - .address_space:  global
        .offset:         88
        .size:           8
        .value_kind:     global_buffer
      - .address_space:  global
        .offset:         96
        .size:           8
        .value_kind:     global_buffer
    .group_segment_fixed_size: 6656
    .kernarg_segment_align: 8
    .kernarg_segment_size: 104
    .language:       OpenCL C
    .language_version:
      - 2
      - 0
    .max_flat_workgroup_size: 64
    .name:           bluestein_single_fwd_len416_dim1_sp_op_CI_CI
    .private_segment_fixed_size: 0
    .sgpr_count:     22
    .sgpr_spill_count: 0
    .symbol:         bluestein_single_fwd_len416_dim1_sp_op_CI_CI.kd
    .uniform_work_group_size: 1
    .uses_dynamic_stack: false
    .vgpr_count:     235
    .vgpr_spill_count: 0
    .wavefront_size: 32
    .workgroup_processor_mode: 1
amdhsa.target:   amdgcn-amd-amdhsa--gfx1201
amdhsa.version:
  - 1
  - 2
...

	.end_amdgpu_metadata
